;; amdgpu-corpus repo=ROCm/aiter kind=harvested arch=n/a opt=n/a

/root/src/amdgpu-assembly/repos/ROCm__aiter/hsa/gfx950/fmoe/gelu/fmoe_fp16_pertokenMXfp4_g1u1_novs_gelu_1tg_ps_32x512.co:	file format elf64-amdgpu

Disassembly of section .text:

0000000000002e00 <_ZN5aiter52fmoe_fp16_pertokenMXfp4_g1u1_novs_gelu_1tg_ps_32x512E>:
	v_lshrrev_b32_e32 v1, 10, v0                               // 000000002E00: 2002008A
	v_lshrrev_b32_e32 v2, 10, v1                               // 000000002E04: 2004028A
	v_and_b32_e32 v2, 0x3ff, v2                                // 000000002E08: 260404FF 000003FF
	v_and_b32_e32 v1, 0x3ff, v1                                // 000000002E10: 260202FF 000003FF
	v_and_b32_e32 v0, 0x3ff, v0                                // 000000002E18: 260000FF 000003FF
	v_lshrrev_b32_e32 v3, 6, v0                                // 000000002E20: 20060086
	v_and_b32_e32 v0, 63, v0                                   // 000000002E24: 260000BF
	s_mov_b32 s2, s2                                           // 000000002E28: BE820002
	s_mov_b32 s3, s3                                           // 000000002E2C: BE830003
	s_mov_b32 s4, s4                                           // 000000002E30: BE840004
	s_mov_b32 s99, s2                                          // 000000002E34: BEE30002
	v_readfirstlane_b32 s7, v3                                 // 000000002E38: 7E0E0503
	s_and_b32 s1, s1, 0xffff                                   // 000000002E3C: 8601FF01 0000FFFF
	s_mov_b32 s96, 0                                           // 000000002E44: BEE00080
	s_mov_b32 s97, 0                                           // 000000002E48: BEE10080
	s_mov_b32 s100, 0                                          // 000000002E4C: BEE40080
	s_load_dword s96, s[0:1], 0x1a0                            // 000000002E50: C0021800 000001A0
	s_load_dword s97, s[0:1], 0x1b0                            // 000000002E58: C0021840 000001B0
	s_waitcnt lgkmcnt(0)                                       // 000000002E60: BF8CC07F
	s_cmp_eq_u32 s96, 0                                        // 000000002E64: BF068060
	s_cbranch_scc1 label_005C                                  // 000000002E68: BF850041
	v_cvt_f32_u32_e32 v2, s97                                  // 000000002E6C: 7E040C61
	s_sub_i32 s60, 0, s97                                      // 000000002E70: 81BC6180
	v_rcp_iflag_f32_e32 v2, v2                                 // 000000002E74: 7E044702
	s_nop 0                                                    // 000000002E78: BF800000
	v_mul_f32_e32 v2, 0x4f7ffffe, v2                           // 000000002E7C: 0A0404FF 4F7FFFFE
	v_cvt_u32_f32_e32 v2, v2                                   // 000000002E84: 7E040F02
	v_mul_lo_u32 v3, s60, v2                                   // 000000002E88: D2850003 0002043C
	v_mul_hi_u32 v3, v2, v3                                    // 000000002E90: D2860003 00020702
	v_add_u32_e32 v2, v2, v3                                   // 000000002E98: 68040702
	v_mul_hi_u32 v2, s96, v2                                   // 000000002E9C: D2860002 00020460
	v_mul_lo_u32 v3, v2, s97                                   // 000000002EA4: D2850003 0000C302
	v_sub_u32_e32 v5, s96, v3                                  // 000000002EAC: 6A0A0660
	v_add_u32_e32 v4, 1, v2                                    // 000000002EB0: 68080481
	v_cmp_le_u32_e32 vcc, s97, v5                              // 000000002EB4: 7D960A61
	v_subrev_u32_e32 v3, s97, v5                               // 000000002EB8: 6C060A61
	s_nop 0                                                    // 000000002EBC: BF800000
	v_cndmask_b32_e32 v2, v2, v4, vcc                          // 000000002EC0: 00040902
	v_cndmask_b32_e32 v5, v5, v3, vcc                          // 000000002EC4: 000A0705
	v_add_u32_e32 v3, 1, v2                                    // 000000002EC8: 68060481
	v_cmp_le_u32_e32 vcc, s97, v5                              // 000000002ECC: 7D960A61
	s_nop 1                                                    // 000000002ED0: BF800001
	v_cndmask_b32_e32 v5, v2, v3, vcc                          // 000000002ED4: 000A0702
	s_nop 3                                                    // 000000002ED8: BF800003
	v_readfirstlane_b32 s98, v5                                // 000000002EDC: 7EC40505
	s_nop 3                                                    // 000000002EE0: BF800003

0000000000002ee4 <label_0039>:
	s_mov_b32 s4, 0                                            // 000000002EE4: BE840080
	v_cvt_f32_u32_e32 v2, s97                                  // 000000002EE8: 7E040C61
	s_sub_i32 s60, 0, s97                                      // 000000002EEC: 81BC6180
	v_rcp_iflag_f32_e32 v2, v2                                 // 000000002EF0: 7E044702
	s_nop 0                                                    // 000000002EF4: BF800000
	v_mul_f32_e32 v2, 0x4f7ffffe, v2                           // 000000002EF8: 0A0404FF 4F7FFFFE
	v_cvt_u32_f32_e32 v2, v2                                   // 000000002F00: 7E040F02
	v_mul_lo_u32 v3, s60, v2                                   // 000000002F04: D2850003 0002043C
	v_mul_hi_u32 v3, v2, v3                                    // 000000002F0C: D2860003 00020702
	v_add_u32_e32 v2, v2, v3                                   // 000000002F14: 68040702
	v_mul_hi_u32 v2, s99, v2                                   // 000000002F18: D2860002 00020463
	v_mul_lo_u32 v3, v2, s97                                   // 000000002F20: D2850003 0000C302
	v_sub_u32_e32 v5, s99, v3                                  // 000000002F28: 6A0A0663
	v_add_u32_e32 v4, 1, v2                                    // 000000002F2C: 68080481
	v_cmp_le_u32_e32 vcc, s97, v5                              // 000000002F30: 7D960A61
	v_subrev_u32_e32 v3, s97, v5                               // 000000002F34: 6C060A61
	s_nop 0                                                    // 000000002F38: BF800000
	v_cndmask_b32_e32 v2, v2, v4, vcc                          // 000000002F3C: 00040902
	v_cndmask_b32_e32 v5, v5, v3, vcc                          // 000000002F40: 000A0705
	v_add_u32_e32 v3, 1, v2                                    // 000000002F44: 68060481
	v_cmp_le_u32_e32 vcc, s97, v5                              // 000000002F48: 7D960A61
	s_nop 1                                                    // 000000002F4C: BF800001
	v_cndmask_b32_e32 v5, v2, v3, vcc                          // 000000002F50: 000A0702
	s_nop 3                                                    // 000000002F54: BF800003
	v_readfirstlane_b32 s3, v5                                 // 000000002F58: 7E060505
	s_nop 3                                                    // 000000002F5C: BF800003
	s_mul_i32 s60, s3, s97                                     // 000000002F60: 923C6103
	s_sub_u32 s2, s99, s60                                     // 000000002F64: 80823C63
	s_mul_i32 s60, s98, s100                                   // 000000002F68: 923C6462
	s_add_i32 s3, s3, s60                                      // 000000002F6C: 81033C03

0000000000002f70 <label_005C>:
	s_and_b32 s1, s1, 0xffff                                   // 000000002F70: 8601FF01 0000FFFF
	s_load_dwordx2 s[8:9], s[0:1], 0x0                         // 000000002F78: C0060200 00000000
	s_load_dwordx2 s[20:21], s[0:1], 0x10                      // 000000002F80: C0060500 00000010
	s_load_dwordx2 s[24:25], s[0:1], 0x20                      // 000000002F88: C0060600 00000020
	s_load_dwordx2 s[50:51], s[0:1], 0x30                      // 000000002F90: C0060C80 00000030
	s_load_dwordx2 s[12:13], s[0:1], 0x40                      // 000000002F98: C0060300 00000040
	s_load_dwordx2 s[28:29], s[0:1], 0x50                      // 000000002FA0: C0060700 00000050
	s_load_dwordx2 s[32:33], s[0:1], 0x60                      // 000000002FA8: C0060800 00000060
	s_load_dwordx2 s[16:17], s[0:1], 0x70                      // 000000002FB0: C0060400 00000070
	s_load_dwordx2 s[36:37], s[0:1], 0x80                      // 000000002FB8: C0060900 00000080
	s_load_dwordx2 s[44:45], s[0:1], 0x90                      // 000000002FC0: C0060B00 00000090
	s_load_dwordx2 s[40:41], s[0:1], 0xa0                      // 000000002FC8: C0060A00 000000A0
	s_load_dwordx2 s[46:47], s[0:1], 0xb0                      // 000000002FD0: C0060B80 000000B0
	s_load_dword s64, s[0:1], 0xc0                             // 000000002FD8: C0021000 000000C0
	s_load_dword s65, s[0:1], 0xd0                             // 000000002FE0: C0021040 000000D0
	s_load_dword s67, s[0:1], 0xf0                             // 000000002FE8: C00210C0 000000F0
	s_load_dword s68, s[0:1], 0x100                            // 000000002FF0: C0021100 00000100
	s_load_dword s69, s[0:1], 0x110                            // 000000002FF8: C0021140 00000110
	s_load_dword s70, s[0:1], 0x120                            // 000000003000: C0021180 00000120
	s_load_dword s71, s[0:1], 0x130                            // 000000003008: C00211C0 00000130
	s_load_dword s72, s[0:1], 0x140                            // 000000003010: C0021200 00000140
	s_load_dword s73, s[0:1], 0x150                            // 000000003018: C0021240 00000150
	s_load_dword s74, s[0:1], 0x160                            // 000000003020: C0021280 00000160
	s_load_dword s75, s[0:1], 0x170                            // 000000003028: C00212C0 00000170
	s_load_dword s76, s[0:1], 0x180                            // 000000003030: C0021300 00000180
	s_mov_b32 s2, s2                                           // 000000003038: BE820002
	s_mov_b32 s3, s3                                           // 00000000303C: BE830003
	s_mov_b32 s4, s4                                           // 000000003040: BE840004
	s_waitcnt lgkmcnt(0)                                       // 000000003044: BF8CC07F
	s_and_b32 s51, s51, 0xffff                                 // 000000003048: 8633FF33 0000FFFF
	s_load_dword s66, s[50:51], 0x4                            // 000000003050: C0021099 00000004
	s_load_dword s50, s[50:51], 0x0                            // 000000003058: C0020C99 00000000
	s_waitcnt lgkmcnt(0)                                       // 000000003060: BF8CC07F
	s_and_b32 s45, s45, 0xffff                                 // 000000003064: 862DFF2D 0000FFFF
	s_and_b32 s47, s47, 0xffff                                 // 00000000306C: 862FFF2F 0000FFFF
	s_and_b32 s9, s9, 0xffff                                   // 000000003074: 8609FF09 0000FFFF
	s_mul_i32 s60, s66, s68                                    // 00000000307C: 923C4442
	s_mov_b32 s22, s60                                         // 000000003080: BE96003C
	s_mov_b32 s26, -16                                         // 000000003084: BE9A00D0
	s_mov_b32 s14, -16                                         // 000000003088: BE8E00D0
	s_mov_b32 s42, -16                                         // 00000000308C: BEAA00D0
	s_mov_b32 s30, -16                                         // 000000003090: BE9E00D0
	s_mov_b32 s34, -16                                         // 000000003094: BEA200D0
	s_mov_b32 s38, -16                                         // 000000003098: BEA600D0
	s_mov_b32 s18, -16                                         // 00000000309C: BE9200D0
	s_mul_i32 s60, s66, s71                                    // 0000000030A0: 923C4742
	s_mov_b32 s10, s60                                         // 0000000030A4: BE8A003C
	s_mov_b32 s23, 0x20000                                     // 0000000030A8: BE9700FF 00020000
	s_mov_b32 s27, 0x20000                                     // 0000000030B0: BE9B00FF 00020000
	s_mov_b32 s15, 0x20000                                     // 0000000030B8: BE8F00FF 00020000
	s_mov_b32 s43, 0x20000                                     // 0000000030C0: BEAB00FF 00020000
	s_mov_b32 s31, 0x20000                                     // 0000000030C8: BE9F00FF 00020000
	s_mov_b32 s35, 0x20000                                     // 0000000030D0: BEA300FF 00020000
	s_mov_b32 s39, 0x20000                                     // 0000000030D8: BEA700FF 00020000
	s_mov_b32 s19, 0x20000                                     // 0000000030E0: BE9300FF 00020000
	s_mov_b32 s11, 0x20000                                     // 0000000030E8: BE8B00FF 00020000
	s_and_b32 s21, s21, 0xffff                                 // 0000000030F0: 8615FF15 0000FFFF
	s_and_b32 s25, s25, 0xffff                                 // 0000000030F8: 8619FF19 0000FFFF
	s_and_b32 s13, s13, 0xffff                                 // 000000003100: 860DFF0D 0000FFFF
	s_and_b32 s41, s41, 0xffff                                 // 000000003108: 8629FF29 0000FFFF
	s_and_b32 s29, s29, 0xffff                                 // 000000003110: 861DFF1D 0000FFFF
	s_and_b32 s33, s33, 0xffff                                 // 000000003118: 8621FF21 0000FFFF
	s_and_b32 s37, s37, 0xffff                                 // 000000003120: 8625FF25 0000FFFF
	s_and_b32 s17, s17, 0xffff                                 // 000000003128: 8611FF11 0000FFFF
	s_or_b32 s21, s21, 0x40000                                 // 000000003130: 8715FF15 00040000
	s_or_b32 s25, s25, 0x40000                                 // 000000003138: 8719FF19 00040000
	s_or_b32 s13, s13, 0x40000                                 // 000000003140: 870DFF0D 00040000
	s_or_b32 s41, s41, 0x40000                                 // 000000003148: 8729FF29 00040000
	s_or_b32 s29, s29, 0x40000                                 // 000000003150: 871DFF1D 00040000
	s_or_b32 s33, s33, 0x40000                                 // 000000003158: 8721FF21 00040000
	s_or_b32 s37, s37, 0x40000                                 // 000000003160: 8725FF25 00040000
	s_or_b32 s17, s17, 0x40000                                 // 000000003168: 8711FF11 00040000
	v_accvgpr_write_b32 a127, 0                                // 000000003170: D3D9407F 18000080
	v_mov_b32_e32 v223, 0                                      // 000000003178: 7FBE0280
	s_waitcnt lgkmcnt(0)                                       // 00000000317C: BF8CC07F
	s_mul_i32 s60, s3, 32                                      // 000000003180: 923CA003
	s_cmp_lt_i32 s60, s50                                      // 000000003184: BF04323C
	s_cbranch_scc0 label_1D04                                  // 000000003188: BF841C21
	s_mov_b32 s80, 0                                           // 00000000318C: BED00080
	s_mov_b32 s81, s64                                         // 000000003190: BED10040
	s_mul_i32 s60, s3, 4                                       // 000000003194: 923C8403
	s_add_u32 s46, s60, s46                                    // 000000003198: 802E2E3C
	s_addc_u32 s47, 0, s47                                     // 00000000319C: 822F2F80
	s_load_dword s5, s[46:47], 0x0                             // 0000000031A0: C0020157 00000000
	s_mul_i32 s60, s3, 32                                      // 0000000031A8: 923CA003
	s_lshr_b32 s61, s7, 1                                      // 0000000031AC: 8F3D8107
	s_mul_i32 s61, s61, 8                                      // 0000000031B0: 923D883D
	s_add_u32 s60, s61, s60                                    // 0000000031B4: 803C3C3D
	s_and_b32 s61, s7, 1                                       // 0000000031B8: 863D8107
	s_mul_i32 s61, s61, 2                                      // 0000000031BC: 923D823D
	s_add_u32 s60, s61, s60                                    // 0000000031C0: 803C3C3D
	s_mul_i32 s60, 4, s60                                      // 0000000031C4: 923C3C84
	s_add_u32 s44, s60, s44                                    // 0000000031C8: 802C2C3C
	s_addc_u32 s45, 0, s45                                     // 0000000031CC: 822D2D80
	s_load_dword s82, s[44:45], 0x0                            // 0000000031D0: C0021496 00000000
	s_load_dword s83, s[44:45], 0x4                            // 0000000031D8: C00214D6 00000004
	s_load_dword s84, s[44:45], 0x10                           // 0000000031E0: C0021516 00000010
	s_load_dword s85, s[44:45], 0x14                           // 0000000031E8: C0021556 00000014
	s_load_dword s86, s[44:45], 0x40                           // 0000000031F0: C0021596 00000040
	s_load_dword s87, s[44:45], 0x44                           // 0000000031F8: C00215D6 00000044
	s_load_dword s88, s[44:45], 0x50                           // 000000003200: C0021616 00000050
	s_load_dword s89, s[44:45], 0x54                           // 000000003208: C0021656 00000054
	s_waitcnt lgkmcnt(0)                                       // 000000003210: BF8CC07F
	s_and_b32 s82, s82, 0xffffff                               // 000000003214: 8652FF52 00FFFFFF
	s_mul_i32 s62, s82, s68                                    // 00000000321C: 923E4452
	s_lshl_b32 s60, 0xff, 0                                    // 000000003220: 8E3C80FF 000000FF
	s_mov_b32 s61, 0                                           // 000000003228: BEBD0080
	s_mov_b64 exec, s[60:61]                                   // 00000000322C: BEFE013C
	v_mov_b32_e32 v51, s62                                     // 000000003230: 7E66023E
	s_and_b32 s83, s83, 0xffffff                               // 000000003234: 8653FF53 00FFFFFF
	s_mul_i32 s62, s83, s68                                    // 00000000323C: 923E4453
	s_lshl_b32 s60, 0xff, 8                                    // 000000003240: 8E3C88FF 000000FF
	s_mov_b64 exec, s[60:61]                                   // 000000003248: BEFE013C
	v_mov_b32_e32 v51, s62                                     // 00000000324C: 7E66023E
	s_and_b32 s84, s84, 0xffffff                               // 000000003250: 8654FF54 00FFFFFF
	s_mul_i32 s62, s84, s68                                    // 000000003258: 923E4454
	s_lshl_b32 s60, 0xff, 16                                   // 00000000325C: 8E3C90FF 000000FF
	s_mov_b64 exec, s[60:61]                                   // 000000003264: BEFE013C
	v_mov_b32_e32 v51, s62                                     // 000000003268: 7E66023E
	s_and_b32 s85, s85, 0xffffff                               // 00000000326C: 8655FF55 00FFFFFF
	s_mul_i32 s62, s85, s68                                    // 000000003274: 923E4455
	s_lshl_b32 s60, 0xff, 24                                   // 000000003278: 8E3C98FF 000000FF
	s_mov_b64 exec, s[60:61]                                   // 000000003280: BEFE013C
	v_mov_b32_e32 v51, s62                                     // 000000003284: 7E66023E
	s_and_b32 s86, s86, 0xffffff                               // 000000003288: 8656FF56 00FFFFFF
	s_mul_i32 s62, s86, s68                                    // 000000003290: 923E4456
	s_lshl_b32 s61, 0xff, 0                                    // 000000003294: 8E3D80FF 000000FF
	s_mov_b32 s60, 0                                           // 00000000329C: BEBC0080
	s_mov_b64 exec, s[60:61]                                   // 0000000032A0: BEFE013C
	v_mov_b32_e32 v51, s62                                     // 0000000032A4: 7E66023E
	s_and_b32 s87, s87, 0xffffff                               // 0000000032A8: 8657FF57 00FFFFFF
	s_mul_i32 s62, s87, s68                                    // 0000000032B0: 923E4457
	s_lshl_b32 s61, 0xff, 8                                    // 0000000032B4: 8E3D88FF 000000FF
	s_mov_b64 exec, s[60:61]                                   // 0000000032BC: BEFE013C
	v_mov_b32_e32 v51, s62                                     // 0000000032C0: 7E66023E
	s_and_b32 s88, s88, 0xffffff                               // 0000000032C4: 8658FF58 00FFFFFF
	s_mul_i32 s62, s88, s68                                    // 0000000032CC: 923E4458
	s_lshl_b32 s61, 0xff, 16                                   // 0000000032D0: 8E3D90FF 000000FF
	s_mov_b64 exec, s[60:61]                                   // 0000000032D8: BEFE013C
	v_mov_b32_e32 v51, s62                                     // 0000000032DC: 7E66023E
	s_and_b32 s89, s89, 0xffffff                               // 0000000032E0: 8659FF59 00FFFFFF
	s_mul_i32 s62, s89, s68                                    // 0000000032E8: 923E4459
	s_lshl_b32 s61, 0xff, 24                                   // 0000000032EC: 8E3D98FF 000000FF
	s_mov_b64 exec, s[60:61]                                   // 0000000032F4: BEFE013C
	v_mov_b32_e32 v51, s62                                     // 0000000032F8: 7E66023E
	s_mov_b32 s60, -1                                          // 0000000032FC: BEBC00C1
	s_mov_b32 s61, -1                                          // 000000003300: BEBD00C1
	s_mov_b64 exec, s[60:61]                                   // 000000003304: BEFE013C
	v_and_b32_e64 v2, v0, 7                                    // 000000003308: D1130002 00010F00
	v_lshlrev_b32_e32 v2, 4, v2                                // 000000003310: 24040484
	v_add_u32_e32 v51, v51, v2                                 // 000000003314: 68660533
	s_mov_b32 s62, 0x80                                        // 000000003318: BEBE00FF 00000080
	v_add_u32_e64 v52, v51, s62                                // 000000003320: D1340034 00007D33
	v_lshlrev_b32_e32 v2, 2, v0                                // 000000003328: 24040082
	s_mul_i32 s60, s82, s71                                    // 00000000332C: 923C4752
	v_add_u32_e64 v144, v2, s60                                // 000000003330: D1340090 00007902
	v_mov_b32_e32 v145, 0                                      // 000000003338: 7F220280
	s_mul_i32 s60, s83, s71                                    // 00000000333C: 923C4753
	v_add_u32_e64 v146, v2, s60                                // 000000003340: D1340092 00007902
	v_mov_b32_e32 v147, 0                                      // 000000003348: 7F260280
	s_mul_i32 s60, s84, s71                                    // 00000000334C: 923C4754
	v_add_u32_e64 v148, v2, s60                                // 000000003350: D1340094 00007902
	v_mov_b32_e32 v149, 0                                      // 000000003358: 7F2A0280
	s_mul_i32 s60, s85, s71                                    // 00000000335C: 923C4755
	v_add_u32_e64 v150, v2, s60                                // 000000003360: D1340096 00007902
	v_mov_b32_e32 v151, 0                                      // 000000003368: 7F2E0280
	s_mul_i32 s60, s86, s71                                    // 00000000336C: 923C4756
	v_add_u32_e64 v152, v2, s60                                // 000000003370: D1340098 00007902
	v_mov_b32_e32 v153, 0                                      // 000000003378: 7F320280
	s_mul_i32 s60, s87, s71                                    // 00000000337C: 923C4757
	v_add_u32_e64 v154, v2, s60                                // 000000003380: D134009A 00007902
	v_mov_b32_e32 v155, 0                                      // 000000003388: 7F360280
	s_mul_i32 s60, s88, s71                                    // 00000000338C: 923C4758
	v_add_u32_e64 v156, v2, s60                                // 000000003390: D134009C 00007902
	v_mov_b32_e32 v157, 0                                      // 000000003398: 7F3A0280
	s_mul_i32 s60, s89, s71                                    // 00000000339C: 923C4759
	v_add_u32_e64 v158, v2, s60                                // 0000000033A0: D134009E 00007902
	v_mov_b32_e32 v159, 0                                      // 0000000033A8: 7F3E0280
	s_mul_i32 s60, s7, 0x420                                   // 0000000033AC: 923CFF07 00000420
	s_add_u32 s50, 0, s60                                      // 0000000033B4: 80323C80
	s_add_u32 s51, 0x1080, s50                                 // 0000000033B8: 803332FF 00001080
	v_and_b32_e32 v2, 15, v0                                   // 0000000033C0: 2604008F
	v_lshrrev_b32_e32 v3, 3, v2                                // 0000000033C4: 20060483
	v_mul_lo_u32 v3, 2, v3                                     // 0000000033C8: D2850003 00020682
	v_and_b32_e32 v2, 3, v0                                    // 0000000033D0: 26040083
	v_lshrrev_b32_e32 v4, 1, v2                                // 0000000033D4: 20080481
	v_add_u32_e32 v2, v3, v4                                   // 0000000033D8: 68040903
	v_mul_i32_i24_e32 v6, 0x420, v2                            // 0000000033DC: 0C0C04FF 00000420
	v_and_b32_e32 v2, 7, v0                                    // 0000000033E4: 26040087
	v_lshrrev_b32_e32 v3, 2, v2                                // 0000000033E8: 20060482
	v_mul_i32_i24_e32 v3, 0x100, v3                            // 0000000033EC: 0C0606FF 00000100
	v_and_b32_e32 v2, 1, v0                                    // 0000000033F4: 26040081
	v_mul_i32_i24_e32 v4, 0x80, v2                             // 0000000033F8: 0C0804FF 00000080
	v_add_u32_e32 v6, v3, v6                                   // 000000003400: 680C0D03
	v_add_u32_e32 v6, v4, v6                                   // 000000003404: 680C0D04
	v_lshrrev_b32_e32 v2, 4, v0                                // 000000003408: 20040084
	v_mul_lo_u32 v2, 16, v2                                    // 00000000340C: D2850002 00020490
	v_add_u32_e32 v6, v2, v6                                   // 000000003414: 680C0D02
	s_mul_i32 s60, s2, 0x200                                   // 000000003418: 923CFF02 00000200
	s_mul_i32 s60, s60, s69                                    // 000000003420: 923C453C
	s_mul_i32 s61, s5, s72                                     // 000000003424: 923D4805
	s_add_u32 s60, s61, s60                                    // 000000003428: 803C3C3D
	s_add_u32 s24, s60, s24                                    // 00000000342C: 8018183C
	s_addc_u32 s25, 0, s25                                     // 000000003430: 82191980
	s_mul_i32 s60, s7, 32                                      // 000000003434: 923CA007
	s_mul_i32 s60, s60, s69                                    // 000000003438: 923C453C
	v_lshlrev_b32_e32 v52, 4, v0                               // 00000000343C: 24680084
	v_add_u32_e32 v52, s60, v52                                // 000000003440: 6868683C
	s_mul_i32 s60, 16, s69                                     // 000000003444: 923C4590
	v_add_u32_e32 v53, s60, v52                                // 000000003448: 686A683C
	s_mul_i32 s60, 0x80, s69                                   // 00000000344C: 923C45FF 00000080
	v_add_u32_e32 v54, s60, v52                                // 000000003454: 686C683C
	v_add_u32_e32 v55, s60, v53                                // 000000003458: 686E6A3C
	v_add_u32_e32 v56, s60, v54                                // 00000000345C: 68706C3C
	v_add_u32_e32 v57, s60, v55                                // 000000003460: 68726E3C
	v_add_u32_e32 v58, s60, v56                                // 000000003464: 6874703C
	v_add_u32_e32 v59, s60, v57                                // 000000003468: 6876723C
	s_mov_b32 s92, s24                                         // 00000000346C: BEDC0018
	s_mov_b32 s93, s25                                         // 000000003470: BEDD0019
	s_mov_b32 s94, s26                                         // 000000003474: BEDE001A
	s_mov_b32 s95, s27                                         // 000000003478: BEDF001B
	s_mul_i32 s60, s69, s65                                    // 00000000347C: 923C4145
	s_add_u32 s92, s60, s92                                    // 000000003480: 805C5C3C
	s_addc_u32 s93, 0, s93                                     // 000000003484: 825D5D80
	s_mul_i32 s60, s2, 0x1000                                  // 000000003488: 923CFF02 00001000
	s_mul_i32 s61, s5, s73                                     // 000000003490: 923D4905
	s_add_u32 s60, s61, s60                                    // 000000003494: 803C3C3D
	s_add_u32 s12, s60, s12                                    // 000000003498: 800C0C3C
	s_addc_u32 s13, 0, s13                                     // 00000000349C: 820D0D80
	s_mul_i32 s60, s7, 32                                      // 0000000034A0: 923CA007
	s_mul_i32 s60, s60, s70                                    // 0000000034A4: 923C463C
	v_lshlrev_b32_e32 v60, 4, v0                               // 0000000034A8: 24780084
	v_add_u32_e32 v60, s60, v60                                // 0000000034AC: 6878783C
	s_mul_i32 s60, 16, s70                                     // 0000000034B0: 923C4690
	v_add_u32_e32 v61, s60, v60                                // 0000000034B4: 687A783C
	s_mul_i32 s60, 0x80, s70                                   // 0000000034B8: 923C46FF 00000080
	v_add_u32_e32 v62, s60, v60                                // 0000000034C0: 687C783C
	v_add_u32_e32 v63, s60, v61                                // 0000000034C4: 687E7A3C
	s_mul_i32 s56, s70, 0x100                                  // 0000000034C8: 9238FF46 00000100
	s_mul_i32 s60, s3, 32                                      // 0000000034D0: 923CA003
	s_mul_i32 s60, 4, s60                                      // 0000000034D4: 923C3C84
	s_add_u32 s40, s60, s40                                    // 0000000034D8: 8028283C
	s_addc_u32 s41, 0, s41                                     // 0000000034DC: 82292980
	v_and_b32_e32 v2, 15, v0                                   // 0000000034E0: 2604008F
	v_lshlrev_b32_e32 v13, 2, v2                               // 0000000034E4: 241A0482
	v_add_u32_e32 v14, 64, v13                                 // 0000000034E8: 681C1AC0
	s_mov_b32 s4, 0x100                                        // 0000000034EC: BE8400FF 00000100
	v_lshlrev_b32_e32 v15, 2, v0                               // 0000000034F4: 241E0082
	s_lshr_b32 s61, s64, 5                                     // 0000000034F8: 8F3D8540
	s_mul_i32 s60, s7, 32                                      // 0000000034FC: 923CA007
	s_mul_i32 s60, s61, s60                                    // 000000003500: 923C3C3D
	v_add_u32_e64 v15, v15, s60                                // 000000003504: D134000F 0000790F
	s_mul_i32 s60, s65, s61                                    // 00000000350C: 923C3D41
	v_add_u32_e64 v19, v15, s60                                // 000000003510: D1340013 0000790F
	s_mul_i32 s60, s61, 0x80                                   // 000000003518: 923CFF3D 00000080
	v_add_u32_e64 v16, v15, s60                                // 000000003520: D1340010 0000790F
	v_add_u32_e64 v20, v19, s60                                // 000000003528: D1340014 00007913
	v_add_u32_e64 v17, v16, s60                                // 000000003530: D1340011 00007910
	v_add_u32_e64 v21, v20, s60                                // 000000003538: D1340015 00007914
	v_add_u32_e64 v18, v17, s60                                // 000000003540: D1340012 00007911
	v_add_u32_e64 v22, v21, s60                                // 000000003548: D1340016 00007915
	s_mul_i32 s60, s2, 0x200                                   // 000000003550: 923CFF02 00000200
	s_mul_i32 s60, s60, s61                                    // 000000003558: 923C3D3C
	s_mul_i32 s61, s5, s74                                     // 00000000355C: 923D4A05
	s_add_u32 s61, s61, s60                                    // 000000003560: 803D3C3D
	s_add_u32 s32, s61, s32                                    // 000000003564: 8020203D
	s_addc_u32 s33, 0, s33                                     // 000000003568: 82212180
	v_lshlrev_b32_e32 v10, 2, v0                               // 00000000356C: 24140082
	s_lshr_b32 s60, s65, 5                                     // 000000003570: 8F3C8541
	s_mul_i32 s61, s7, 32                                      // 000000003574: 923DA007
	s_mul_i32 s61, s61, s60                                    // 000000003578: 923D3C3D
	v_add_u32_e32 v10, s61, v10                                // 00000000357C: 6814143D
	s_mul_i32 s60, s60, 0x80                                   // 000000003580: 923CFF3C 00000080
	v_add_u32_e64 v11, v10, s60                                // 000000003588: D134000B 0000790A
	s_mul_i32 s60, s2, 0x200                                   // 000000003590: 923CFF02 00000200
	s_mul_i32 s61, s5, s75                                     // 000000003598: 923D4B05
	s_add_u32 s60, s60, s61                                    // 00000000359C: 803C3D3C
	s_add_u32 s16, s60, s16                                    // 0000000035A0: 8010103C
	s_addc_u32 s17, 0, s17                                     // 0000000035A4: 82111180
	s_mov_b32 s57, 0x80                                        // 0000000035A8: BEB900FF 00000080
	s_mov_b32 s58, 0x800                                       // 0000000035B0: BEBA00FF 00000800
	s_lshr_b32 s60, s65, 5                                     // 0000000035B8: 8F3C8541
	s_mul_i32 s79, s60, 0x100                                  // 0000000035BC: 924FFF3C 00000100
	s_mov_b32 s59, 0                                           // 0000000035C4: BEBB0080
	s_mov_b32 s90, s58                                         // 0000000035C8: BEDA003A
	s_mov_b32 s52, 0x7060302                                   // 0000000035CC: BEB400FF 07060302
	s_mov_b32 s53, 0x400                                       // 0000000035D4: BEB500FF 00000400
	s_mov_b32 s54, 0x40100                                     // 0000000035DC: BEB600FF 00040100
	s_mov_b32 s55, 0x4020100                                   // 0000000035E4: BEB700FF 04020100
	s_mov_b32 s6, 0x3fb8aa3b                                   // 0000000035EC: BE8600FF 3FB8AA3B
	s_mov_b32 s77, 0xbd92220c                                  // 0000000035F4: BECD00FF BD92220C
	s_mov_b32 m0, s50                                          // 0000000035FC: BEFC0032
	s_mul_i32 s60, s3, 32                                      // 000000003600: 923CA003
	s_mul_i32 s60, s64, s60                                    // 000000003604: 923C3C40
	s_lshr_b32 s60, s60, 5                                     // 000000003608: 8F3C853C
	s_add_u32 s28, s60, s28                                    // 00000000360C: 801C1C3C
	s_addc_u32 s29, 0, s29                                     // 000000003610: 821D1D80
	v_lshlrev_b32_e32 v12, 2, v0                               // 000000003614: 24180082
	s_mov_b32 s3, 0x100                                        // 000000003618: BE8300FF 00000100
	buffer_load_dword v25, v15, s[32:35], 0 offen              // 000000003620: E0501000 8008190F
	buffer_load_dword v26, v16, s[32:35], 0 offen              // 000000003628: E0501000 80081A10
	buffer_load_dword v27, v17, s[32:35], 0 offen              // 000000003630: E0501000 80081B11
	buffer_load_dword v28, v18, s[32:35], 0 offen              // 000000003638: E0501000 80081C12
	buffer_load_dword v41, v13, s[40:43], 0 offen              // 000000003640: E0501000 800A290D
	buffer_load_dword v42, v14, s[40:43], 0 offen              // 000000003648: E0501000 800A2A0E
	buffer_load_dwordx4 v51, s[20:23], 0 offen lds             // 000000003650: E05D1000 80050033
	s_add_u32 m0, 0, s51                                       // 000000003658: 807C3380
	buffer_load_dword v23, v12, s[28:31], 0 offen              // 00000000365C: E0501000 8007170C
	s_add_u32 s20, s57, s20                                    // 000000003664: 80141439
	s_addc_u32 s21, 0, s21                                     // 000000003668: 82151580
	s_add_u32 s28, s3, s28                                     // 00000000366C: 801C1C03
	s_addc_u32 s29, 0, s29                                     // 000000003670: 821D1D80
	buffer_load_dwordx4 a[0:3], v52, s[24:27], 0 offen         // 000000003674: E05C1000 80860034
	buffer_load_dwordx4 a[4:7], v53, s[24:27], 0 offen         // 00000000367C: E05C1000 80860435
	buffer_load_dwordx4 a[8:11], v54, s[24:27], 0 offen        // 000000003684: E05C1000 80860836
	buffer_load_dwordx4 a[12:15], v55, s[24:27], 0 offen       // 00000000368C: E05C1000 80860C37
	buffer_load_dwordx4 a[16:19], v56, s[24:27], 0 offen       // 000000003694: E05C1000 80861038
	buffer_load_dwordx4 a[20:23], v57, s[24:27], 0 offen       // 00000000369C: E05C1000 80861439
	buffer_load_dwordx4 a[24:27], v58, s[24:27], 0 offen       // 0000000036A4: E05C1000 8086183A
	buffer_load_dwordx4 a[28:31], v59, s[24:27], 0 offen       // 0000000036AC: E05C1000 80861C3B
	buffer_load_dwordx4 a[32:35], v52, s[24:27], 0 offen offset:1024// 0000000036B4: E05C1400 80862034
	buffer_load_dwordx4 a[36:39], v53, s[24:27], 0 offen offset:1024// 0000000036BC: E05C1400 80862435
	buffer_load_dwordx4 a[40:43], v54, s[24:27], 0 offen offset:1024// 0000000036C4: E05C1400 80862836
	buffer_load_dwordx4 a[44:47], v55, s[24:27], 0 offen offset:1024// 0000000036CC: E05C1400 80862C37
	buffer_load_dwordx4 a[48:51], v56, s[24:27], 0 offen offset:1024// 0000000036D4: E05C1400 80863038
	buffer_load_dwordx4 a[52:55], v57, s[24:27], 0 offen offset:1024// 0000000036DC: E05C1400 80863439
	buffer_load_dwordx4 a[56:59], v58, s[24:27], 0 offen offset:1024// 0000000036E4: E05C1400 8086383A
	buffer_load_dwordx4 a[60:63], v59, s[24:27], 0 offen offset:1024// 0000000036EC: E05C1400 80863C3B
	s_add_u32 s24, s58, s24                                    // 0000000036F4: 8018183A
	s_addc_u32 s25, 0, s25                                     // 0000000036F8: 82191980
	v_mov_b32_e32 v64, 0                                       // 0000000036FC: 7E800280
	v_mov_b32_e32 v128, 0                                      // 000000003700: 7F000280
	v_mov_b32_e32 v65, 0                                       // 000000003704: 7E820280
	v_mov_b32_e32 v129, 0                                      // 000000003708: 7F020280
	v_mov_b32_e32 v66, 0                                       // 00000000370C: 7E840280
	v_mov_b32_e32 v130, 0                                      // 000000003710: 7F040280
	v_mov_b32_e32 v67, 0                                       // 000000003714: 7E860280
	v_mov_b32_e32 v131, 0                                      // 000000003718: 7F060280
	v_mov_b32_e32 v68, 0                                       // 00000000371C: 7E880280
	v_mov_b32_e32 v132, 0                                      // 000000003720: 7F080280
	v_mov_b32_e32 v69, 0                                       // 000000003724: 7E8A0280
	v_mov_b32_e32 v133, 0                                      // 000000003728: 7F0A0280
	v_mov_b32_e32 v70, 0                                       // 00000000372C: 7E8C0280
	v_mov_b32_e32 v134, 0                                      // 000000003730: 7F0C0280
	v_mov_b32_e32 v71, 0                                       // 000000003734: 7E8E0280
	v_mov_b32_e32 v135, 0                                      // 000000003738: 7F0E0280
	v_mov_b32_e32 v72, 0                                       // 00000000373C: 7E900280
	v_mov_b32_e32 v136, 0                                      // 000000003740: 7F100280
	v_mov_b32_e32 v73, 0                                       // 000000003744: 7E920280
	v_mov_b32_e32 v137, 0                                      // 000000003748: 7F120280
	v_mov_b32_e32 v74, 0                                       // 00000000374C: 7E940280
	v_mov_b32_e32 v138, 0                                      // 000000003750: 7F140280
	v_mov_b32_e32 v75, 0                                       // 000000003754: 7E960280
	v_mov_b32_e32 v139, 0                                      // 000000003758: 7F160280
	v_mov_b32_e32 v76, 0                                       // 00000000375C: 7E980280
	v_mov_b32_e32 v140, 0                                      // 000000003760: 7F180280
	v_mov_b32_e32 v77, 0                                       // 000000003764: 7E9A0280
	v_mov_b32_e32 v141, 0                                      // 000000003768: 7F1A0280
	v_mov_b32_e32 v78, 0                                       // 00000000376C: 7E9C0280
	v_mov_b32_e32 v142, 0                                      // 000000003770: 7F1C0280
	v_mov_b32_e32 v79, 0                                       // 000000003774: 7E9E0280
	v_mov_b32_e32 v143, 0                                      // 000000003778: 7F1E0280
	v_mov_b32_e32 v80, 0                                       // 00000000377C: 7EA00280
	v_mov_b32_e32 v144, 0                                      // 000000003780: 7F200280
	v_mov_b32_e32 v81, 0                                       // 000000003784: 7EA20280
	v_mov_b32_e32 v145, 0                                      // 000000003788: 7F220280
	v_mov_b32_e32 v82, 0                                       // 00000000378C: 7EA40280
	v_mov_b32_e32 v146, 0                                      // 000000003790: 7F240280
	v_mov_b32_e32 v83, 0                                       // 000000003794: 7EA60280
	v_mov_b32_e32 v147, 0                                      // 000000003798: 7F260280
	v_mov_b32_e32 v84, 0                                       // 00000000379C: 7EA80280
	v_mov_b32_e32 v148, 0                                      // 0000000037A0: 7F280280
	v_mov_b32_e32 v85, 0                                       // 0000000037A4: 7EAA0280
	v_mov_b32_e32 v149, 0                                      // 0000000037A8: 7F2A0280
	v_mov_b32_e32 v86, 0                                       // 0000000037AC: 7EAC0280
	v_mov_b32_e32 v150, 0                                      // 0000000037B0: 7F2C0280
	v_mov_b32_e32 v87, 0                                       // 0000000037B4: 7EAE0280
	v_mov_b32_e32 v151, 0                                      // 0000000037B8: 7F2E0280
	v_mov_b32_e32 v88, 0                                       // 0000000037BC: 7EB00280
	v_mov_b32_e32 v152, 0                                      // 0000000037C0: 7F300280
	v_mov_b32_e32 v89, 0                                       // 0000000037C4: 7EB20280
	v_mov_b32_e32 v153, 0                                      // 0000000037C8: 7F320280
	v_mov_b32_e32 v90, 0                                       // 0000000037CC: 7EB40280
	v_mov_b32_e32 v154, 0                                      // 0000000037D0: 7F340280
	v_mov_b32_e32 v91, 0                                       // 0000000037D4: 7EB60280
	v_mov_b32_e32 v155, 0                                      // 0000000037D8: 7F360280
	v_mov_b32_e32 v92, 0                                       // 0000000037DC: 7EB80280
	v_mov_b32_e32 v156, 0                                      // 0000000037E0: 7F380280
	v_mov_b32_e32 v93, 0                                       // 0000000037E4: 7EBA0280
	v_mov_b32_e32 v157, 0                                      // 0000000037E8: 7F3A0280
	v_mov_b32_e32 v94, 0                                       // 0000000037EC: 7EBC0280
	v_mov_b32_e32 v158, 0                                      // 0000000037F0: 7F3C0280
	v_mov_b32_e32 v95, 0                                       // 0000000037F4: 7EBE0280
	v_mov_b32_e32 v159, 0                                      // 0000000037F8: 7F3E0280
	v_mov_b32_e32 v96, 0                                       // 0000000037FC: 7EC00280
	v_mov_b32_e32 v160, 0                                      // 000000003800: 7F400280
	v_mov_b32_e32 v97, 0                                       // 000000003804: 7EC20280
	v_mov_b32_e32 v161, 0                                      // 000000003808: 7F420280
	v_mov_b32_e32 v98, 0                                       // 00000000380C: 7EC40280
	v_mov_b32_e32 v162, 0                                      // 000000003810: 7F440280
	v_mov_b32_e32 v99, 0                                       // 000000003814: 7EC60280
	v_mov_b32_e32 v163, 0                                      // 000000003818: 7F460280
	v_mov_b32_e32 v100, 0                                      // 00000000381C: 7EC80280
	v_mov_b32_e32 v164, 0                                      // 000000003820: 7F480280
	v_mov_b32_e32 v101, 0                                      // 000000003824: 7ECA0280
	v_mov_b32_e32 v165, 0                                      // 000000003828: 7F4A0280
	v_mov_b32_e32 v102, 0                                      // 00000000382C: 7ECC0280
	v_mov_b32_e32 v166, 0                                      // 000000003830: 7F4C0280
	v_mov_b32_e32 v103, 0                                      // 000000003834: 7ECE0280
	v_mov_b32_e32 v167, 0                                      // 000000003838: 7F4E0280
	v_mov_b32_e32 v104, 0                                      // 00000000383C: 7ED00280
	v_mov_b32_e32 v168, 0                                      // 000000003840: 7F500280
	v_mov_b32_e32 v105, 0                                      // 000000003844: 7ED20280
	v_mov_b32_e32 v169, 0                                      // 000000003848: 7F520280
	v_mov_b32_e32 v106, 0                                      // 00000000384C: 7ED40280
	v_mov_b32_e32 v170, 0                                      // 000000003850: 7F540280
	v_mov_b32_e32 v107, 0                                      // 000000003854: 7ED60280
	v_mov_b32_e32 v171, 0                                      // 000000003858: 7F560280
	v_mov_b32_e32 v108, 0                                      // 00000000385C: 7ED80280
	v_mov_b32_e32 v172, 0                                      // 000000003860: 7F580280
	v_mov_b32_e32 v109, 0                                      // 000000003864: 7EDA0280
	v_mov_b32_e32 v173, 0                                      // 000000003868: 7F5A0280
	v_mov_b32_e32 v110, 0                                      // 00000000386C: 7EDC0280
	v_mov_b32_e32 v174, 0                                      // 000000003870: 7F5C0280
	v_mov_b32_e32 v111, 0                                      // 000000003874: 7EDE0280
	v_mov_b32_e32 v175, 0                                      // 000000003878: 7F5E0280
	v_mov_b32_e32 v112, 0                                      // 00000000387C: 7EE00280
	v_mov_b32_e32 v176, 0                                      // 000000003880: 7F600280
	v_mov_b32_e32 v113, 0                                      // 000000003884: 7EE20280
	v_mov_b32_e32 v177, 0                                      // 000000003888: 7F620280
	v_mov_b32_e32 v114, 0                                      // 00000000388C: 7EE40280
	v_mov_b32_e32 v178, 0                                      // 000000003890: 7F640280
	v_mov_b32_e32 v115, 0                                      // 000000003894: 7EE60280
	v_mov_b32_e32 v179, 0                                      // 000000003898: 7F660280
	v_mov_b32_e32 v116, 0                                      // 00000000389C: 7EE80280
	v_mov_b32_e32 v180, 0                                      // 0000000038A0: 7F680280
	v_mov_b32_e32 v117, 0                                      // 0000000038A4: 7EEA0280
	v_mov_b32_e32 v181, 0                                      // 0000000038A8: 7F6A0280
	v_mov_b32_e32 v118, 0                                      // 0000000038AC: 7EEC0280
	v_mov_b32_e32 v182, 0                                      // 0000000038B0: 7F6C0280
	v_mov_b32_e32 v119, 0                                      // 0000000038B4: 7EEE0280
	v_mov_b32_e32 v183, 0                                      // 0000000038B8: 7F6E0280
	v_mov_b32_e32 v120, 0                                      // 0000000038BC: 7EF00280
	v_mov_b32_e32 v184, 0                                      // 0000000038C0: 7F700280
	v_mov_b32_e32 v121, 0                                      // 0000000038C4: 7EF20280
	v_mov_b32_e32 v185, 0                                      // 0000000038C8: 7F720280
	v_mov_b32_e32 v122, 0                                      // 0000000038CC: 7EF40280
	v_mov_b32_e32 v186, 0                                      // 0000000038D0: 7F740280
	v_mov_b32_e32 v123, 0                                      // 0000000038D4: 7EF60280
	v_mov_b32_e32 v187, 0                                      // 0000000038D8: 7F760280
	v_mov_b32_e32 v124, 0                                      // 0000000038DC: 7EF80280
	v_mov_b32_e32 v188, 0                                      // 0000000038E0: 7F780280
	v_mov_b32_e32 v125, 0                                      // 0000000038E4: 7EFA0280
	v_mov_b32_e32 v189, 0                                      // 0000000038E8: 7F7A0280
	v_mov_b32_e32 v126, 0                                      // 0000000038EC: 7EFC0280
	v_mov_b32_e32 v190, 0                                      // 0000000038F0: 7F7C0280
	v_mov_b32_e32 v127, 0                                      // 0000000038F4: 7EFE0280
	v_mov_b32_e32 v191, 0                                      // 0000000038F8: 7F7E0280
	v_lshrrev_b32_e32 v2, 4, v0                                // 0000000038FC: 20040084
	v_mul_lo_u32 v8, 34, v2                                    // 000000003900: D2850008 000204A2
	v_and_b32_e32 v2, 15, v0                                   // 000000003908: 2604008F
	v_mul_lo_u32 v3, 2, v2                                     // 00000000390C: D2850003 00020482
	v_add_u32_e32 v8, v3, v8                                   // 000000003914: 68101103
	s_mul_i32 s60, s7, 0x110                                   // 000000003918: 923CFF07 00000110
	v_add_u32_e32 v8, s60, v8                                  // 000000003920: 6810103C
	v_lshlrev_b32_e32 v8, 2, v8                                // 000000003924: 24101082
	v_lshrrev_b32_e32 v2, 1, v0                                // 000000003928: 20040081
	v_mul_lo_u32 v9, 34, v2                                    // 00000000392C: D2850009 000204A2
	v_and_b32_e32 v3, 1, v0                                    // 000000003934: 26060081
	v_add_u32_e32 v9, v3, v9                                   // 000000003938: 68121303
	s_lshr_b32 s60, s7, 1                                      // 00000000393C: 8F3C8107
	s_mul_i32 s60, s60, 8                                      // 000000003940: 923C883C
	s_and_b32 s61, s7, 1                                       // 000000003944: 863D8107
	s_mul_i32 s61, s61, 2                                      // 000000003948: 923D823D
	s_add_u32 s60, s61, s60                                    // 00000000394C: 803C3C3D
	s_mul_i32 s60, 2, s60                                      // 000000003950: 923C3C82
	v_add_u32_e32 v9, s60, v9                                  // 000000003954: 6812123C
	v_lshlrev_b32_e32 v9, 2, v9                                // 000000003958: 24121282
	s_waitcnt vmcnt(16)                                        // 00000000395C: BF8C4F70
	s_barrier                                                  // 000000003960: BF8A0000
	ds_read_b128 v[192:195], v6                                // 000000003964: D9FE0000 C0000006
	ds_read_b128 v[196:199], v6 offset:64                      // 00000000396C: D9FE0040 C4000006
	ds_read_b128 v[200:203], v6 offset:512                     // 000000003974: D9FE0200 C8000006
	ds_read_b128 v[204:207], v6 offset:576                     // 00000000397C: D9FE0240 CC000006
	s_cmp_lt_i32 s7, 2                                         // 000000003984: BF048207
	s_cbranch_scc0 label_0F4A                                  // 000000003988: BF840C67

000000000000398c <label_02E3>:
	s_waitcnt vmcnt(14) lgkmcnt(0)                             // 00000000398C: BF8C007E
	s_barrier                                                  // 000000003990: BF8A0000
	v_mfma_scale_f32_16x16x128_f8f6f4 v[64:67], a[0:3], v[192:195], v[64:67], v25, v23 op_sel_hi:[0,0,0] cbsz:4 blgp:4// 000000003994: D3AC6000 00022F19 D3AD0C40 8D038100
	v_mfma_scale_f32_16x16x128_f8f6f4 v[96:99], a[0:3], v[200:203], v[96:99], v25, v23 op_sel_hi:[0,0,0] cbsz:4 blgp:4// 0000000039A4: D3AC7000 00022F19 D3AD0C60 8D839100
	buffer_load_dwordx4 a[64:67], v52, s[92:95], 0 offen       // 0000000039B4: E05C1000 80974034
	buffer_load_dwordx4 v51, s[20:23], 0 offen lds             // 0000000039BC: E05D1000 80050033
	s_add_u32 m0, 0, s50                                       // 0000000039C4: 807C3280
	v_mfma_scale_f32_16x16x128_f8f6f4 v[68:71], a[4:7], v[192:195], v[68:71], v25, v23 op_sel_hi:[0,0,0] cbsz:4 blgp:4// 0000000039C8: D3AC6800 00022F19 D3AD0C44 8D138104
	v_mfma_scale_f32_16x16x128_f8f6f4 v[100:103], a[4:7], v[200:203], v[100:103], v25, v23 op_sel_hi:[0,0,0] cbsz:4 blgp:4// 0000000039D8: D3AC7800 00022F19 D3AD0C64 8D939104
	buffer_load_dwordx4 a[68:71], v53, s[92:95], 0 offen       // 0000000039E8: E05C1000 80974435
	buffer_load_dword v24, v12, s[28:31], 0 offen              // 0000000039F0: E0501000 8007180C
	buffer_load_dword v33, v19, s[32:35], 0 offen              // 0000000039F8: E0501000 80082113
	buffer_load_dword v34, v20, s[32:35], 0 offen              // 000000003A00: E0501000 80082214
	buffer_load_dword v35, v21, s[32:35], 0 offen              // 000000003A08: E0501000 80082315
	buffer_load_dword v36, v22, s[32:35], 0 offen              // 000000003A10: E0501000 80082416
	s_waitcnt vmcnt(20)                                        // 000000003A18: BF8C4F74
	v_mfma_scale_f32_16x16x128_f8f6f4 v[72:75], a[8:11], v[192:195], v[72:75], v26, v23 op_sel_hi:[0,0,0] cbsz:4 blgp:4// 000000003A1C: D3AC6000 00022F1A D3AD0C48 8D238108
	v_mfma_scale_f32_16x16x128_f8f6f4 v[104:107], a[8:11], v[200:203], v[104:107], v26, v23 op_sel_hi:[0,0,0] cbsz:4 blgp:4// 000000003A2C: D3AC7000 00022F1A D3AD0C68 8DA39108
	buffer_load_dwordx4 a[72:75], v54, s[92:95], 0 offen       // 000000003A3C: E05C1000 80974836
	v_mfma_scale_f32_16x16x128_f8f6f4 v[76:79], a[12:15], v[192:195], v[76:79], v26, v23 op_sel_hi:[0,0,0] cbsz:4 blgp:4// 000000003A44: D3AC6800 00022F1A D3AD0C4C 8D33810C
	v_mfma_scale_f32_16x16x128_f8f6f4 v[108:111], a[12:15], v[200:203], v[108:111], v26, v23 op_sel_hi:[0,0,0] cbsz:4 blgp:4// 000000003A54: D3AC7800 00022F1A D3AD0C6C 8DB3910C
	buffer_load_dwordx4 a[76:79], v55, s[92:95], 0 offen       // 000000003A64: E05C1000 80974C37
	s_waitcnt vmcnt(20)                                        // 000000003A6C: BF8C4F74
	v_mfma_scale_f32_16x16x128_f8f6f4 v[80:83], a[16:19], v[192:195], v[80:83], v27, v23 op_sel_hi:[0,0,0] cbsz:4 blgp:4// 000000003A70: D3AC6000 00022F1B D3AD0C50 8D438110
	v_mfma_scale_f32_16x16x128_f8f6f4 v[112:115], a[16:19], v[200:203], v[112:115], v27, v23 op_sel_hi:[0,0,0] cbsz:4 blgp:4// 000000003A80: D3AC7000 00022F1B D3AD0C70 8DC39110
	buffer_load_dwordx4 a[80:83], v56, s[92:95], 0 offen       // 000000003A90: E05C1000 80975038
	v_mfma_scale_f32_16x16x128_f8f6f4 v[84:87], a[20:23], v[192:195], v[84:87], v27, v23 op_sel_hi:[0,0,0] cbsz:4 blgp:4// 000000003A98: D3AC6800 00022F1B D3AD0C54 8D538114
	v_mfma_scale_f32_16x16x128_f8f6f4 v[116:119], a[20:23], v[200:203], v[116:119], v27, v23 op_sel_hi:[0,0,0] cbsz:4 blgp:4// 000000003AA8: D3AC7800 00022F1B D3AD0C74 8DD39114
	buffer_load_dwordx4 a[84:87], v57, s[92:95], 0 offen       // 000000003AB8: E05C1000 80975439
	s_waitcnt vmcnt(20)                                        // 000000003AC0: BF8C4F74
	v_mfma_scale_f32_16x16x128_f8f6f4 v[88:91], a[24:27], v[192:195], v[88:91], v28, v23 op_sel_hi:[0,0,0] cbsz:4 blgp:4// 000000003AC4: D3AC6000 00022F1C D3AD0C58 8D638118
	v_mfma_scale_f32_16x16x128_f8f6f4 v[120:123], a[24:27], v[200:203], v[120:123], v28, v23 op_sel_hi:[0,0,0] cbsz:4 blgp:4// 000000003AD4: D3AC7000 00022F1C D3AD0C78 8DE39118
	buffer_load_dwordx4 a[88:91], v58, s[92:95], 0 offen       // 000000003AE4: E05C1000 8097583A
	v_mfma_scale_f32_16x16x128_f8f6f4 v[92:95], a[28:31], v[192:195], v[92:95], v28, v23 op_sel_hi:[0,0,0] cbsz:4 blgp:4// 000000003AEC: D3AC6800 00022F1C D3AD0C5C 8D73811C
	v_mfma_scale_f32_16x16x128_f8f6f4 v[124:127], a[28:31], v[200:203], v[124:127], v28, v23 op_sel_hi:[0,0,0] cbsz:4 blgp:4// 000000003AFC: D3AC7800 00022F1C D3AD0C7C 8DF3911C
	buffer_load_dwordx4 a[92:95], v59, s[92:95], 0 offen       // 000000003B0C: E05C1000 80975C3B
	s_nop 0                                                    // 000000003B14: BF800000
	s_waitcnt vmcnt(20)                                        // 000000003B18: BF8C4F74
	v_mfma_scale_f32_16x16x128_f8f6f4 v[64:67], a[32:35], v[196:199], v[64:67], v25, v23 op_sel_hi:[0,0,0] cbsz:4 blgp:4// 000000003B1C: D3AC6000 18022F19 D3AD0C40 8D038920
	v_mfma_scale_f32_16x16x128_f8f6f4 v[96:99], a[32:35], v[204:207], v[96:99], v25, v23 op_sel_hi:[0,0,0] cbsz:4 blgp:4// 000000003B2C: D3AC7000 18022F19 D3AD0C60 8D839920
	buffer_load_dwordx4 a[96:99], v52, s[92:95], 0 offen offset:1024// 000000003B3C: E05C1400 80976034
	v_mfma_scale_f32_16x16x128_f8f6f4 v[68:71], a[36:39], v[196:199], v[68:71], v25, v23 op_sel_hi:[0,0,0] cbsz:4 blgp:4// 000000003B44: D3AC6800 18022F19 D3AD0C44 8D138924
	v_mfma_scale_f32_16x16x128_f8f6f4 v[100:103], a[36:39], v[204:207], v[100:103], v25, v23 op_sel_hi:[0,0,0] cbsz:4 blgp:4// 000000003B54: D3AC7800 18022F19 D3AD0C64 8D939924
	buffer_load_dwordx4 a[100:103], v53, s[92:95], 0 offen offset:1024// 000000003B64: E05C1400 80976435
	s_waitcnt vmcnt(20)                                        // 000000003B6C: BF8C4F74
	v_mfma_scale_f32_16x16x128_f8f6f4 v[72:75], a[40:43], v[196:199], v[72:75], v26, v23 op_sel_hi:[0,0,0] cbsz:4 blgp:4// 000000003B70: D3AC6000 18022F1A D3AD0C48 8D238928
	v_mfma_scale_f32_16x16x128_f8f6f4 v[104:107], a[40:43], v[204:207], v[104:107], v26, v23 op_sel_hi:[0,0,0] cbsz:4 blgp:4// 000000003B80: D3AC7000 18022F1A D3AD0C68 8DA39928
	buffer_load_dwordx4 a[104:107], v54, s[92:95], 0 offen offset:1024// 000000003B90: E05C1400 80976836
	v_mfma_scale_f32_16x16x128_f8f6f4 v[76:79], a[44:47], v[196:199], v[76:79], v26, v23 op_sel_hi:[0,0,0] cbsz:4 blgp:4// 000000003B98: D3AC6800 18022F1A D3AD0C4C 8D33892C
	v_mfma_scale_f32_16x16x128_f8f6f4 v[108:111], a[44:47], v[204:207], v[108:111], v26, v23 op_sel_hi:[0,0,0] cbsz:4 blgp:4// 000000003BA8: D3AC7800 18022F1A D3AD0C6C 8DB3992C
	buffer_load_dwordx4 a[108:111], v55, s[92:95], 0 offen offset:1024// 000000003BB8: E05C1400 80976C37
	s_waitcnt vmcnt(20)                                        // 000000003BC0: BF8C4F74
	v_mfma_scale_f32_16x16x128_f8f6f4 v[80:83], a[48:51], v[196:199], v[80:83], v27, v23 op_sel_hi:[0,0,0] cbsz:4 blgp:4// 000000003BC4: D3AC6000 18022F1B D3AD0C50 8D438930
	v_mfma_scale_f32_16x16x128_f8f6f4 v[112:115], a[48:51], v[204:207], v[112:115], v27, v23 op_sel_hi:[0,0,0] cbsz:4 blgp:4// 000000003BD4: D3AC7000 18022F1B D3AD0C70 8DC39930
	buffer_load_dwordx4 a[112:115], v56, s[92:95], 0 offen offset:1024// 000000003BE4: E05C1400 80977038
	v_mfma_scale_f32_16x16x128_f8f6f4 v[84:87], a[52:55], v[196:199], v[84:87], v27, v23 op_sel_hi:[0,0,0] cbsz:4 blgp:4// 000000003BEC: D3AC6800 18022F1B D3AD0C54 8D538934
	v_mfma_scale_f32_16x16x128_f8f6f4 v[116:119], a[52:55], v[204:207], v[116:119], v27, v23 op_sel_hi:[0,0,0] cbsz:4 blgp:4// 000000003BFC: D3AC7800 18022F1B D3AD0C74 8DD39934
	buffer_load_dwordx4 a[116:119], v57, s[92:95], 0 offen offset:1024// 000000003C0C: E05C1400 80977439
	s_waitcnt vmcnt(20)                                        // 000000003C14: BF8C4F74
	v_mfma_scale_f32_16x16x128_f8f6f4 v[88:91], a[56:59], v[196:199], v[88:91], v28, v23 op_sel_hi:[0,0,0] cbsz:4 blgp:4// 000000003C18: D3AC6000 18022F1C D3AD0C58 8D638938
	v_mfma_scale_f32_16x16x128_f8f6f4 v[120:123], a[56:59], v[204:207], v[120:123], v28, v23 op_sel_hi:[0,0,0] cbsz:4 blgp:4// 000000003C28: D3AC7000 18022F1C D3AD0C78 8DE39938
	buffer_load_dwordx4 a[120:123], v58, s[92:95], 0 offen offset:1024// 000000003C38: E05C1400 8097783A
	v_mfma_scale_f32_16x16x128_f8f6f4 v[92:95], a[60:63], v[196:199], v[92:95], v28, v23 op_sel_hi:[0,0,0] cbsz:4 blgp:4// 000000003C40: D3AC6800 18022F1C D3AD0C5C 8D73893C
	v_mfma_scale_f32_16x16x128_f8f6f4 v[124:127], a[60:63], v[204:207], v[124:127], v28, v23 op_sel_hi:[0,0,0] cbsz:4 blgp:4// 000000003C50: D3AC7800 18022F1C D3AD0C7C 8DF3993C
	buffer_load_dwordx4 a[124:127], v59, s[92:95], 0 offen offset:1024// 000000003C60: E05C1400 80977C3B
	s_add_u32 s60, 0x100, s80                                  // 000000003C68: 803C50FF 00000100
	s_cmp_lt_u32 s60, s81                                      // 000000003C70: BF0A513C
	s_cselect_b32 s4, s4, 0                                    // 000000003C74: 85048004
	s_add_u32 s32, s4, s32                                     // 000000003C78: 80202004
	s_addc_u32 s33, 0, s33                                     // 000000003C7C: 82212180
	s_waitcnt vmcnt(14)                                        // 000000003C80: BF8C0F7E
	s_barrier                                                  // 000000003C84: BF8A0000
	v_mfma_scale_f32_16x16x128_f8f6f4 v[128:131], a[64:67], v[192:195], v[128:131], v33, v23 op_sel_hi:[0,0,0] cbsz:4 blgp:4// 000000003C88: D3AC6000 00022F21 D3AD0C80 8E038140
	v_mfma_scale_f32_16x16x128_f8f6f4 v[160:163], a[64:67], v[200:203], v[160:163], v33, v23 op_sel_hi:[0,0,0] cbsz:4 blgp:4// 000000003C98: D3AC7000 00022F21 D3AD0CA0 8E839140
	buffer_load_dwordx4 a[0:3], v52, s[24:27], 0 offen         // 000000003CA8: E05C1000 80860034
	buffer_load_dword v29, v15, s[32:35], 0 offen              // 000000003CB0: E0501000 80081D0F
	buffer_load_dword v30, v16, s[32:35], 0 offen              // 000000003CB8: E0501000 80081E10
	v_mfma_scale_f32_16x16x128_f8f6f4 v[132:135], a[68:71], v[192:195], v[132:135], v33, v23 op_sel_hi:[0,0,0] cbsz:4 blgp:4// 000000003CC0: D3AC6800 00022F21 D3AD0C84 8E138144
	v_mfma_scale_f32_16x16x128_f8f6f4 v[164:167], a[68:71], v[200:203], v[164:167], v33, v23 op_sel_hi:[0,0,0] cbsz:4 blgp:4// 000000003CD0: D3AC7800 00022F21 D3AD0CA4 8E939144
	buffer_load_dwordx4 a[4:7], v53, s[24:27], 0 offen         // 000000003CE0: E05C1000 80860435
	buffer_load_dword v31, v17, s[32:35], 0 offen              // 000000003CE8: E0501000 80081F11
	buffer_load_dword v32, v18, s[32:35], 0 offen              // 000000003CF0: E0501000 80082012
	s_waitcnt vmcnt(18)                                        // 000000003CF8: BF8C4F72
	v_mfma_scale_f32_16x16x128_f8f6f4 v[136:139], a[72:75], v[192:195], v[136:139], v34, v23 op_sel_hi:[0,0,0] cbsz:4 blgp:4// 000000003CFC: D3AC6000 00022F22 D3AD0C88 8E238148
	v_mfma_scale_f32_16x16x128_f8f6f4 v[168:171], a[72:75], v[200:203], v[168:171], v34, v23 op_sel_hi:[0,0,0] cbsz:4 blgp:4// 000000003D0C: D3AC7000 00022F22 D3AD0CA8 8EA39148
	buffer_load_dwordx4 a[8:11], v54, s[24:27], 0 offen        // 000000003D1C: E05C1000 80860836
	v_mfma_scale_f32_16x16x128_f8f6f4 v[140:143], a[76:79], v[192:195], v[140:143], v34, v23 op_sel_hi:[0,0,0] cbsz:4 blgp:4// 000000003D24: D3AC6800 00022F22 D3AD0C8C 8E33814C
	v_mfma_scale_f32_16x16x128_f8f6f4 v[172:175], a[76:79], v[200:203], v[172:175], v34, v23 op_sel_hi:[0,0,0] cbsz:4 blgp:4// 000000003D34: D3AC7800 00022F22 D3AD0CAC 8EB3914C
	buffer_load_dwordx4 a[12:15], v55, s[24:27], 0 offen       // 000000003D44: E05C1000 80860C37
	s_waitcnt vmcnt(18)                                        // 000000003D4C: BF8C4F72
	v_mfma_scale_f32_16x16x128_f8f6f4 v[144:147], a[80:83], v[192:195], v[144:147], v35, v23 op_sel_hi:[0,0,0] cbsz:4 blgp:4// 000000003D50: D3AC6000 00022F23 D3AD0C90 8E438150
	v_mfma_scale_f32_16x16x128_f8f6f4 v[176:179], a[80:83], v[200:203], v[176:179], v35, v23 op_sel_hi:[0,0,0] cbsz:4 blgp:4// 000000003D60: D3AC7000 00022F23 D3AD0CB0 8EC39150
	buffer_load_dwordx4 a[16:19], v56, s[24:27], 0 offen       // 000000003D70: E05C1000 80861038
	v_mfma_scale_f32_16x16x128_f8f6f4 v[148:151], a[84:87], v[192:195], v[148:151], v35, v23 op_sel_hi:[0,0,0] cbsz:4 blgp:4// 000000003D78: D3AC6800 00022F23 D3AD0C94 8E538154
	v_mfma_scale_f32_16x16x128_f8f6f4 v[180:183], a[84:87], v[200:203], v[180:183], v35, v23 op_sel_hi:[0,0,0] cbsz:4 blgp:4// 000000003D88: D3AC7800 00022F23 D3AD0CB4 8ED39154
	buffer_load_dwordx4 a[20:23], v57, s[24:27], 0 offen       // 000000003D98: E05C1000 80861439
	s_waitcnt vmcnt(18)                                        // 000000003DA0: BF8C4F72
	v_mfma_scale_f32_16x16x128_f8f6f4 v[152:155], a[88:91], v[192:195], v[152:155], v36, v23 op_sel_hi:[0,0,0] cbsz:4 blgp:4// 000000003DA4: D3AC6000 00022F24 D3AD0C98 8E638158
	v_mfma_scale_f32_16x16x128_f8f6f4 v[184:187], a[88:91], v[200:203], v[184:187], v36, v23 op_sel_hi:[0,0,0] cbsz:4 blgp:4// 000000003DB4: D3AC7000 00022F24 D3AD0CB8 8EE39158
	buffer_load_dwordx4 a[24:27], v58, s[24:27], 0 offen       // 000000003DC4: E05C1000 8086183A
	v_mfma_scale_f32_16x16x128_f8f6f4 v[156:159], a[92:95], v[192:195], v[156:159], v36, v23 op_sel_hi:[0,0,0] cbsz:4 blgp:4// 000000003DCC: D3AC6800 00022F24 D3AD0C9C 8E73815C
	v_mfma_scale_f32_16x16x128_f8f6f4 v[188:191], a[92:95], v[200:203], v[188:191], v36, v23 op_sel_hi:[0,0,0] cbsz:4 blgp:4// 000000003DDC: D3AC7800 00022F24 D3AD0CBC 8EF3915C
	buffer_load_dwordx4 a[28:31], v59, s[24:27], 0 offen       // 000000003DEC: E05C1000 80861C3B
	s_waitcnt vmcnt(18)                                        // 000000003DF4: BF8C4F72
	v_mfma_scale_f32_16x16x128_f8f6f4 v[128:131], a[96:99], v[196:199], v[128:131], v33, v23 op_sel_hi:[0,0,0] cbsz:4 blgp:4// 000000003DF8: D3AC6000 18022F21 D3AD0C80 8E038960
	ds_read_b128 v[208:211], v6 offset:4224                    // 000000003E08: D9FE1080 D0000006
	ds_read_b128 v[212:215], v6 offset:4288                    // 000000003E10: D9FE10C0 D4000006
	v_mfma_scale_f32_16x16x128_f8f6f4 v[160:163], a[96:99], v[204:207], v[160:163], v33, v23 op_sel_hi:[0,0,0] cbsz:4 blgp:4// 000000003E18: D3AC7000 18022F21 D3AD0CA0 8E839960
	buffer_load_dwordx4 a[32:35], v52, s[24:27], 0 offen offset:1024// 000000003E28: E05C1400 80862034
	v_mfma_scale_f32_16x16x128_f8f6f4 v[132:135], a[100:103], v[196:199], v[132:135], v33, v23 op_sel_hi:[0,0,0] cbsz:4 blgp:4// 000000003E30: D3AC6800 18022F21 D3AD0C84 8E138964
	ds_read_b128 v[216:219], v6 offset:4736                    // 000000003E40: D9FE1280 D8000006
	ds_read_b128 v[220:223], v6 offset:4800                    // 000000003E48: D9FE12C0 DC000006
	v_mfma_scale_f32_16x16x128_f8f6f4 v[164:167], a[100:103], v[204:207], v[164:167], v33, v23 op_sel_hi:[0,0,0] cbsz:4 blgp:4// 000000003E50: D3AC7800 18022F21 D3AD0CA4 8E939964
	buffer_load_dwordx4 a[36:39], v53, s[24:27], 0 offen offset:1024// 000000003E60: E05C1400 80862435
	s_waitcnt vmcnt(18)                                        // 000000003E68: BF8C4F72
	v_mfma_scale_f32_16x16x128_f8f6f4 v[136:139], a[104:107], v[196:199], v[136:139], v34, v23 op_sel_hi:[0,0,0] cbsz:4 blgp:4// 000000003E6C: D3AC6000 18022F22 D3AD0C88 8E238968
	v_mfma_scale_f32_16x16x128_f8f6f4 v[168:171], a[104:107], v[204:207], v[168:171], v34, v23 op_sel_hi:[0,0,0] cbsz:4 blgp:4// 000000003E7C: D3AC7000 18022F22 D3AD0CA8 8EA39968
	buffer_load_dwordx4 a[40:43], v54, s[24:27], 0 offen offset:1024// 000000003E8C: E05C1400 80862836
	v_mfma_scale_f32_16x16x128_f8f6f4 v[140:143], a[108:111], v[196:199], v[140:143], v34, v23 op_sel_hi:[0,0,0] cbsz:4 blgp:4// 000000003E94: D3AC6800 18022F22 D3AD0C8C 8E33896C
	v_mfma_scale_f32_16x16x128_f8f6f4 v[172:175], a[108:111], v[204:207], v[172:175], v34, v23 op_sel_hi:[0,0,0] cbsz:4 blgp:4// 000000003EA4: D3AC7800 18022F22 D3AD0CAC 8EB3996C
	buffer_load_dwordx4 a[44:47], v55, s[24:27], 0 offen offset:1024// 000000003EB4: E05C1400 80862C37
	s_waitcnt vmcnt(18)                                        // 000000003EBC: BF8C4F72
	v_mfma_scale_f32_16x16x128_f8f6f4 v[144:147], a[112:115], v[196:199], v[144:147], v35, v23 op_sel_hi:[0,0,0] cbsz:4 blgp:4// 000000003EC0: D3AC6000 18022F23 D3AD0C90 8E438970
	v_mfma_scale_f32_16x16x128_f8f6f4 v[176:179], a[112:115], v[204:207], v[176:179], v35, v23 op_sel_hi:[0,0,0] cbsz:4 blgp:4// 000000003ED0: D3AC7000 18022F23 D3AD0CB0 8EC39970
	buffer_load_dwordx4 a[48:51], v56, s[24:27], 0 offen offset:1024// 000000003EE0: E05C1400 80863038
	v_mfma_scale_f32_16x16x128_f8f6f4 v[148:151], a[116:119], v[196:199], v[148:151], v35, v23 op_sel_hi:[0,0,0] cbsz:4 blgp:4// 000000003EE8: D3AC6800 18022F23 D3AD0C94 8E538974
	v_mfma_scale_f32_16x16x128_f8f6f4 v[180:183], a[116:119], v[204:207], v[180:183], v35, v23 op_sel_hi:[0,0,0] cbsz:4 blgp:4// 000000003EF8: D3AC7800 18022F23 D3AD0CB4 8ED39974
	buffer_load_dwordx4 a[52:55], v57, s[24:27], 0 offen offset:1024// 000000003F08: E05C1400 80863439
	s_waitcnt vmcnt(18)                                        // 000000003F10: BF8C4F72
	v_mfma_scale_f32_16x16x128_f8f6f4 v[152:155], a[120:123], v[196:199], v[152:155], v36, v23 op_sel_hi:[0,0,0] cbsz:4 blgp:4// 000000003F14: D3AC6000 18022F24 D3AD0C98 8E638978
	v_mfma_scale_f32_16x16x128_f8f6f4 v[184:187], a[120:123], v[204:207], v[184:187], v36, v23 op_sel_hi:[0,0,0] cbsz:4 blgp:4// 000000003F24: D3AC7000 18022F24 D3AD0CB8 8EE39978
	buffer_load_dwordx4 a[56:59], v58, s[24:27], 0 offen offset:1024// 000000003F34: E05C1400 8086383A
	v_mfma_scale_f32_16x16x128_f8f6f4 v[156:159], a[124:127], v[196:199], v[156:159], v36, v23 op_sel_hi:[0,0,0] cbsz:4 blgp:4// 000000003F3C: D3AC6800 18022F24 D3AD0C9C 8E73897C
	v_mfma_scale_f32_16x16x128_f8f6f4 v[188:191], a[124:127], v[204:207], v[188:191], v36, v23 op_sel_hi:[0,0,0] cbsz:4 blgp:4// 000000003F4C: D3AC7800 18022F24 D3AD0CBC 8EF3997C
	buffer_load_dwordx4 a[60:63], v59, s[24:27], 0 offen offset:1024// 000000003F5C: E05C1400 80863C3B
	s_add_u32 s60, 0x200, s80                                  // 000000003F64: 803C50FF 00000200
	s_cmp_lt_u32 s60, s81                                      // 000000003F6C: BF0A513C
	s_cselect_b32 s57, s57, 0                                  // 000000003F70: 85398039
	s_cselect_b32 s3, s3, 0                                    // 000000003F74: 85038003
	s_add_u32 s60, 0x200, s80                                  // 000000003F78: 803C50FF 00000200
	s_cmp_lt_u32 s60, s81                                      // 000000003F80: BF0A513C
	s_cselect_b32 s58, s58, 0                                  // 000000003F84: 853A803A
	s_add_u32 s20, s57, s20                                    // 000000003F88: 80141439
	s_addc_u32 s21, 0, s21                                     // 000000003F8C: 82151580
	s_add_u32 s28, s3, s28                                     // 000000003F90: 801C1C03
	s_addc_u32 s29, 0, s29                                     // 000000003F94: 821D1D80
	s_add_u32 s24, s58, s24                                    // 000000003F98: 8018183A
	s_addc_u32 s25, 0, s25                                     // 000000003F9C: 82191980
	s_add_u32 s92, s90, s92                                    // 000000003FA0: 805C5C5A
	s_addc_u32 s93, 0, s93                                     // 000000003FA4: 825D5D80
	s_addk_i32 s80, 0x100                                      // 000000003FA8: B7500100
	s_cmp_lt_i32 s80, s81                                      // 000000003FAC: BF045150
	s_cbranch_scc0 label_05F8                                  // 000000003FB0: BF84018B
	s_waitcnt vmcnt(14) lgkmcnt(0)                             // 000000003FB4: BF8C007E
	s_barrier                                                  // 000000003FB8: BF8A0000
	v_mfma_scale_f32_16x16x128_f8f6f4 v[64:67], a[0:3], v[208:211], v[64:67], v29, v24 op_sel_hi:[0,0,0] cbsz:4 blgp:4// 000000003FBC: D3AC6000 0002311D D3AD0C40 8D03A100
	v_mfma_scale_f32_16x16x128_f8f6f4 v[96:99], a[0:3], v[216:219], v[96:99], v29, v24 op_sel_hi:[0,0,0] cbsz:4 blgp:4// 000000003FCC: D3AC7000 0002311D D3AD0C60 8D83B100
	buffer_load_dwordx4 a[64:67], v52, s[92:95], 0 offen       // 000000003FDC: E05C1000 80974034
	buffer_load_dwordx4 v51, s[20:23], 0 offen lds             // 000000003FE4: E05D1000 80050033
	s_add_u32 m0, 0, s51                                       // 000000003FEC: 807C3380
	v_mfma_scale_f32_16x16x128_f8f6f4 v[68:71], a[4:7], v[208:211], v[68:71], v29, v24 op_sel_hi:[0,0,0] cbsz:4 blgp:4// 000000003FF0: D3AC6800 0002311D D3AD0C44 8D13A104
	v_mfma_scale_f32_16x16x128_f8f6f4 v[100:103], a[4:7], v[216:219], v[100:103], v29, v24 op_sel_hi:[0,0,0] cbsz:4 blgp:4// 000000004000: D3AC7800 0002311D D3AD0C64 8D93B104
	buffer_load_dwordx4 a[68:71], v53, s[92:95], 0 offen       // 000000004010: E05C1000 80974435
	buffer_load_dword v23, v12, s[28:31], 0 offen              // 000000004018: E0501000 8007170C
	buffer_load_dword v37, v19, s[32:35], 0 offen              // 000000004020: E0501000 80082513
	buffer_load_dword v38, v20, s[32:35], 0 offen              // 000000004028: E0501000 80082614
	;; [unrolled: 1-line block ×4, first 2 shown]
	s_waitcnt vmcnt(20)                                        // 000000004040: BF8C4F74
	v_mfma_scale_f32_16x16x128_f8f6f4 v[72:75], a[8:11], v[208:211], v[72:75], v30, v24 op_sel_hi:[0,0,0] cbsz:4 blgp:4// 000000004044: D3AC6000 0002311E D3AD0C48 8D23A108
	v_mfma_scale_f32_16x16x128_f8f6f4 v[104:107], a[8:11], v[216:219], v[104:107], v30, v24 op_sel_hi:[0,0,0] cbsz:4 blgp:4// 000000004054: D3AC7000 0002311E D3AD0C68 8DA3B108
	buffer_load_dwordx4 a[72:75], v54, s[92:95], 0 offen       // 000000004064: E05C1000 80974836
	v_mfma_scale_f32_16x16x128_f8f6f4 v[76:79], a[12:15], v[208:211], v[76:79], v30, v24 op_sel_hi:[0,0,0] cbsz:4 blgp:4// 00000000406C: D3AC2800 0002311E D3AD0C4C 8D33A10C
	v_mfma_scale_f32_16x16x128_f8f6f4 v[108:111], a[12:15], v[216:219], v[108:111], v30, v24 op_sel_hi:[0,0,0] cbsz:4 blgp:4// 00000000407C: D3AC7800 0002311E D3AD0C6C 8DB3B10C
	buffer_load_dwordx4 a[76:79], v55, s[92:95], 0 offen       // 00000000408C: E05C1000 80974C37
	s_waitcnt vmcnt(20)                                        // 000000004094: BF8C4F74
	v_mfma_scale_f32_16x16x128_f8f6f4 v[80:83], a[16:19], v[208:211], v[80:83], v31, v24 op_sel_hi:[0,0,0] cbsz:4 blgp:4// 000000004098: D3AC6000 0002311F D3AD0C50 8D43A110
	v_mfma_scale_f32_16x16x128_f8f6f4 v[112:115], a[16:19], v[216:219], v[112:115], v31, v24 op_sel_hi:[0,0,0] cbsz:4 blgp:4// 0000000040A8: D3AC7000 0002311F D3AD0C70 8DC3B110
	buffer_load_dwordx4 a[80:83], v56, s[92:95], 0 offen       // 0000000040B8: E05C1000 80975038
	v_mfma_scale_f32_16x16x128_f8f6f4 v[84:87], a[20:23], v[208:211], v[84:87], v31, v24 op_sel_hi:[0,0,0] cbsz:4 blgp:4// 0000000040C0: D3AC6800 0002311F D3AD0C54 8D53A114
	v_mfma_scale_f32_16x16x128_f8f6f4 v[116:119], a[20:23], v[216:219], v[116:119], v31, v24 op_sel_hi:[0,0,0] cbsz:4 blgp:4// 0000000040D0: D3AC7800 0002311F D3AD0C74 8DD3B114
	buffer_load_dwordx4 a[84:87], v57, s[92:95], 0 offen       // 0000000040E0: E05C1000 80975439
	s_waitcnt vmcnt(20)                                        // 0000000040E8: BF8C4F74
	v_mfma_scale_f32_16x16x128_f8f6f4 v[88:91], a[24:27], v[208:211], v[88:91], v32, v24 op_sel_hi:[0,0,0] cbsz:4 blgp:4// 0000000040EC: D3AC6000 00023120 D3AD0C58 8D63A118
	v_mfma_scale_f32_16x16x128_f8f6f4 v[120:123], a[24:27], v[216:219], v[120:123], v32, v24 op_sel_hi:[0,0,0] cbsz:4 blgp:4// 0000000040FC: D3AC7000 00023120 D3AD0C78 8DE3B118
	buffer_load_dwordx4 a[88:91], v58, s[92:95], 0 offen       // 00000000410C: E05C1000 8097583A
	v_mfma_scale_f32_16x16x128_f8f6f4 v[92:95], a[28:31], v[208:211], v[92:95], v32, v24 op_sel_hi:[0,0,0] cbsz:4 blgp:4// 000000004114: D3AC6800 00023120 D3AD0C5C 8D73A11C
	v_mfma_scale_f32_16x16x128_f8f6f4 v[124:127], a[28:31], v[216:219], v[124:127], v32, v24 op_sel_hi:[0,0,0] cbsz:4 blgp:4// 000000004124: D3AC7800 00023120 D3AD0C7C 8DF3B11C
	buffer_load_dwordx4 a[92:95], v59, s[92:95], 0 offen       // 000000004134: E05C1000 80975C3B
	s_nop 0                                                    // 00000000413C: BF800000
	s_waitcnt vmcnt(20)                                        // 000000004140: BF8C4F74
	v_mfma_scale_f32_16x16x128_f8f6f4 v[64:67], a[32:35], v[212:215], v[64:67], v29, v24 op_sel_hi:[0,0,0] cbsz:4 blgp:4// 000000004144: D3AC6000 1802311D D3AD0C40 8D03A920
	v_mfma_scale_f32_16x16x128_f8f6f4 v[96:99], a[32:35], v[220:223], v[96:99], v29, v24 op_sel_hi:[0,0,0] cbsz:4 blgp:4// 000000004154: D3AC7000 1802311D D3AD0C60 8D83B920
	buffer_load_dwordx4 a[96:99], v52, s[92:95], 0 offen offset:1024// 000000004164: E05C1400 80976034
	v_mfma_scale_f32_16x16x128_f8f6f4 v[68:71], a[36:39], v[212:215], v[68:71], v29, v24 op_sel_hi:[0,0,0] cbsz:4 blgp:4// 00000000416C: D3AC6800 1802311D D3AD0C44 8D13A924
	v_mfma_scale_f32_16x16x128_f8f6f4 v[100:103], a[36:39], v[220:223], v[100:103], v29, v24 op_sel_hi:[0,0,0] cbsz:4 blgp:4// 00000000417C: D3AC7800 1802311D D3AD0C64 8D93B924
	buffer_load_dwordx4 a[100:103], v53, s[92:95], 0 offen offset:1024// 00000000418C: E05C1400 80976435
	s_waitcnt vmcnt(20)                                        // 000000004194: BF8C4F74
	v_mfma_scale_f32_16x16x128_f8f6f4 v[72:75], a[40:43], v[212:215], v[72:75], v30, v24 op_sel_hi:[0,0,0] cbsz:4 blgp:4// 000000004198: D3AC6000 1802311E D3AD0C48 8D23A928
	v_mfma_scale_f32_16x16x128_f8f6f4 v[104:107], a[40:43], v[220:223], v[104:107], v30, v24 op_sel_hi:[0,0,0] cbsz:4 blgp:4// 0000000041A8: D3AC7000 1802311E D3AD0C68 8DA3B928
	buffer_load_dwordx4 a[104:107], v54, s[92:95], 0 offen offset:1024// 0000000041B8: E05C1400 80976836
	v_mfma_scale_f32_16x16x128_f8f6f4 v[76:79], a[44:47], v[212:215], v[76:79], v30, v24 op_sel_hi:[0,0,0] cbsz:4 blgp:4// 0000000041C0: D3AC6800 1802311E D3AD0C4C 8D33A92C
	v_mfma_scale_f32_16x16x128_f8f6f4 v[108:111], a[44:47], v[220:223], v[108:111], v30, v24 op_sel_hi:[0,0,0] cbsz:4 blgp:4// 0000000041D0: D3AC7800 1802311E D3AD0C6C 8DB3B92C
	buffer_load_dwordx4 a[108:111], v55, s[92:95], 0 offen offset:1024// 0000000041E0: E05C1400 80976C37
	s_waitcnt vmcnt(20)                                        // 0000000041E8: BF8C4F74
	v_mfma_scale_f32_16x16x128_f8f6f4 v[80:83], a[48:51], v[212:215], v[80:83], v31, v24 op_sel_hi:[0,0,0] cbsz:4 blgp:4// 0000000041EC: D3AC2000 1802311F D3AD0C50 8D43A930
	v_mfma_scale_f32_16x16x128_f8f6f4 v[112:115], a[48:51], v[220:223], v[112:115], v31, v24 op_sel_hi:[0,0,0] cbsz:4 blgp:4// 0000000041FC: D3AC7000 1802311F D3AD0C70 8DC3B930
	buffer_load_dwordx4 a[112:115], v56, s[92:95], 0 offen offset:1024// 00000000420C: E05C1400 80977038
	v_mfma_scale_f32_16x16x128_f8f6f4 v[84:87], a[52:55], v[212:215], v[84:87], v31, v24 op_sel_hi:[0,0,0] cbsz:4 blgp:4// 000000004214: D3AC6800 1802311F D3AD0C54 8D53A934
	v_mfma_scale_f32_16x16x128_f8f6f4 v[116:119], a[52:55], v[220:223], v[116:119], v31, v24 op_sel_hi:[0,0,0] cbsz:4 blgp:4// 000000004224: D3AC7800 1802311F D3AD0C74 8DD3B934
	buffer_load_dwordx4 a[116:119], v57, s[92:95], 0 offen offset:1024// 000000004234: E05C1400 80977439
	s_waitcnt vmcnt(20)                                        // 00000000423C: BF8C4F74
	v_mfma_scale_f32_16x16x128_f8f6f4 v[88:91], a[56:59], v[212:215], v[88:91], v32, v24 op_sel_hi:[0,0,0] cbsz:4 blgp:4// 000000004240: D3AC6000 18023120 D3AD0C58 8D63A938
	v_mfma_scale_f32_16x16x128_f8f6f4 v[120:123], a[56:59], v[220:223], v[120:123], v32, v24 op_sel_hi:[0,0,0] cbsz:4 blgp:4// 000000004250: D3AC7000 18023120 D3AD0C78 8DE3B938
	buffer_load_dwordx4 a[120:123], v58, s[92:95], 0 offen offset:1024// 000000004260: E05C1400 8097783A
	v_mfma_scale_f32_16x16x128_f8f6f4 v[92:95], a[60:63], v[212:215], v[92:95], v32, v24 op_sel_hi:[0,0,0] cbsz:4 blgp:4// 000000004268: D3AC6800 18023120 D3AD0C5C 8D73A93C
	v_mfma_scale_f32_16x16x128_f8f6f4 v[124:127], a[60:63], v[220:223], v[124:127], v32, v24 op_sel_hi:[0,0,0] cbsz:4 blgp:4// 000000004278: D3AC7800 18023120 D3AD0C7C 8DF3B93C
	buffer_load_dwordx4 a[124:127], v59, s[92:95], 0 offen offset:1024// 000000004288: E05C1400 80977C3B
	s_add_u32 s60, 0x100, s80                                  // 000000004290: 803C50FF 00000100
	s_cmp_lt_u32 s60, s81                                      // 000000004298: BF0A513C
	s_cselect_b32 s4, s4, 0                                    // 00000000429C: 85048004
	s_add_u32 s32, s4, s32                                     // 0000000042A0: 80202004
	s_addc_u32 s33, 0, s33                                     // 0000000042A4: 82212180
	s_waitcnt vmcnt(14)                                        // 0000000042A8: BF8C0F7E
	s_barrier                                                  // 0000000042AC: BF8A0000
	v_mfma_scale_f32_16x16x128_f8f6f4 v[128:131], a[64:67], v[208:211], v[128:131], v37, v24 op_sel_hi:[0,0,0] cbsz:4 blgp:4// 0000000042B0: D3AC4000 00023125 D3AD0C80 8E03A140
	v_mfma_scale_f32_16x16x128_f8f6f4 v[160:163], a[64:67], v[216:219], v[160:163], v37, v24 op_sel_hi:[0,0,0] cbsz:4 blgp:4// 0000000042C0: D3AC7000 00023125 D3AD0CA0 8E83B140
	buffer_load_dwordx4 a[0:3], v52, s[24:27], 0 offen         // 0000000042D0: E05C1000 80860034
	buffer_load_dword v25, v15, s[32:35], 0 offen              // 0000000042D8: E0501000 8008190F
	buffer_load_dword v26, v16, s[32:35], 0 offen              // 0000000042E0: E0501000 80081A10
	v_mfma_scale_f32_16x16x128_f8f6f4 v[132:135], a[68:71], v[208:211], v[132:135], v37, v24 op_sel_hi:[0,0,0] cbsz:4 blgp:4// 0000000042E8: D3AC6800 00023125 D3AD0C84 8E13A144
	v_mfma_scale_f32_16x16x128_f8f6f4 v[164:167], a[68:71], v[216:219], v[164:167], v37, v24 op_sel_hi:[0,0,0] cbsz:4 blgp:4// 0000000042F8: D3AC7800 00023125 D3AD0CA4 8E93B144
	buffer_load_dwordx4 a[4:7], v53, s[24:27], 0 offen         // 000000004308: E05C1000 80860435
	buffer_load_dword v27, v17, s[32:35], 0 offen              // 000000004310: E0501000 80081B11
	buffer_load_dword v28, v18, s[32:35], 0 offen              // 000000004318: E0501000 80081C12
	s_waitcnt vmcnt(18)                                        // 000000004320: BF8C4F72
	v_mfma_scale_f32_16x16x128_f8f6f4 v[136:139], a[72:75], v[208:211], v[136:139], v38, v24 op_sel_hi:[0,0,0] cbsz:4 blgp:4// 000000004324: D3AC6000 00023126 D3AD0C88 8E23A148
	v_mfma_scale_f32_16x16x128_f8f6f4 v[168:171], a[72:75], v[216:219], v[168:171], v38, v24 op_sel_hi:[0,0,0] cbsz:4 blgp:4// 000000004334: D3AC3000 00023126 D3AD0CA8 8EA3B148
	buffer_load_dwordx4 a[8:11], v54, s[24:27], 0 offen        // 000000004344: E05C1000 80860836
	v_mfma_scale_f32_16x16x128_f8f6f4 v[140:143], a[76:79], v[208:211], v[140:143], v38, v24 op_sel_hi:[0,0,0] cbsz:4 blgp:4// 00000000434C: D3AC6800 00023126 D3AD0C8C 8E33A14C
	v_mfma_scale_f32_16x16x128_f8f6f4 v[172:175], a[76:79], v[216:219], v[172:175], v38, v24 op_sel_hi:[0,0,0] cbsz:4 blgp:4// 00000000435C: D3AC7800 00023126 D3AD0CAC 8EB3B14C
	buffer_load_dwordx4 a[12:15], v55, s[24:27], 0 offen       // 00000000436C: E05C1000 80860C37
	s_waitcnt vmcnt(18)                                        // 000000004374: BF8C4F72
	v_mfma_scale_f32_16x16x128_f8f6f4 v[144:147], a[80:83], v[208:211], v[144:147], v39, v24 op_sel_hi:[0,0,0] cbsz:4 blgp:4// 000000004378: D3AC6000 00023127 D3AD0C90 8E43A150
	v_mfma_scale_f32_16x16x128_f8f6f4 v[176:179], a[80:83], v[216:219], v[176:179], v39, v24 op_sel_hi:[0,0,0] cbsz:4 blgp:4// 000000004388: D3AC7000 00023127 D3AD0CB0 8EC3B150
	buffer_load_dwordx4 a[16:19], v56, s[24:27], 0 offen       // 000000004398: E05C1000 80861038
	v_mfma_scale_f32_16x16x128_f8f6f4 v[148:151], a[84:87], v[208:211], v[148:151], v39, v24 op_sel_hi:[0,0,0] cbsz:4 blgp:4// 0000000043A0: D3AC6800 00023127 D3AD0C94 8E53A154
	v_mfma_scale_f32_16x16x128_f8f6f4 v[180:183], a[84:87], v[216:219], v[180:183], v39, v24 op_sel_hi:[0,0,0] cbsz:4 blgp:4// 0000000043B0: D3AC7800 00023127 D3AD0CB4 8ED3B154
	buffer_load_dwordx4 a[20:23], v57, s[24:27], 0 offen       // 0000000043C0: E05C1000 80861439
	s_waitcnt vmcnt(18)                                        // 0000000043C8: BF8C4F72
	v_mfma_scale_f32_16x16x128_f8f6f4 v[152:155], a[88:91], v[208:211], v[152:155], v40, v24 op_sel_hi:[0,0,0] cbsz:4 blgp:4// 0000000043CC: D3AC6000 00023128 D3AD0C98 8E63A158
	v_mfma_scale_f32_16x16x128_f8f6f4 v[184:187], a[88:91], v[216:219], v[184:187], v40, v24 op_sel_hi:[0,0,0] cbsz:4 blgp:4// 0000000043DC: D3AC7000 00023128 D3AD0CB8 8EE3B158
	buffer_load_dwordx4 a[24:27], v58, s[24:27], 0 offen       // 0000000043EC: E05C1000 8086183A
	v_mfma_scale_f32_16x16x128_f8f6f4 v[156:159], a[92:95], v[208:211], v[156:159], v40, v24 op_sel_hi:[0,0,0] cbsz:4 blgp:4// 0000000043F4: D3AC6800 00023128 D3AD0C9C 8E73A15C
	v_mfma_scale_f32_16x16x128_f8f6f4 v[188:191], a[92:95], v[216:219], v[188:191], v40, v24 op_sel_hi:[0,0,0] cbsz:4 blgp:4// 000000004404: D3AC7800 00023128 D3AD0CBC 8EF3B15C
	buffer_load_dwordx4 a[28:31], v59, s[24:27], 0 offen       // 000000004414: E05C1000 80861C3B
	s_waitcnt vmcnt(18)                                        // 00000000441C: BF8C4F72
	v_mfma_scale_f32_16x16x128_f8f6f4 v[128:131], a[96:99], v[212:215], v[128:131], v37, v24 op_sel_hi:[0,0,0] cbsz:4 blgp:4// 000000004420: D3AC6000 18023125 D3AD0C80 8E03A960
	ds_read_b128 v[192:195], v6                                // 000000004430: D9FE0000 C0000006
	ds_read_b128 v[196:199], v6 offset:64                      // 000000004438: D9FE0040 C4000006
	v_mfma_scale_f32_16x16x128_f8f6f4 v[160:163], a[96:99], v[220:223], v[160:163], v37, v24 op_sel_hi:[0,0,0] cbsz:4 blgp:4// 000000004440: D3AC7000 18023125 D3AD0CA0 8E83B960
	buffer_load_dwordx4 a[32:35], v52, s[24:27], 0 offen offset:1024// 000000004450: E05C1400 80862034
	v_mfma_scale_f32_16x16x128_f8f6f4 v[132:135], a[100:103], v[212:215], v[132:135], v37, v24 op_sel_hi:[0,0,0] cbsz:4 blgp:4// 000000004458: D3AC6800 18023125 D3AD0C84 8E13A964
	ds_read_b128 v[200:203], v6 offset:512                     // 000000004468: D9FE0200 C8000006
	ds_read_b128 v[204:207], v6 offset:576                     // 000000004470: D9FE0240 CC000006
	v_mfma_scale_f32_16x16x128_f8f6f4 v[164:167], a[100:103], v[220:223], v[164:167], v37, v24 op_sel_hi:[0,0,0] cbsz:4 blgp:4// 000000004478: D3AC3800 18023125 D3AD0CA4 8E93B964
	buffer_load_dwordx4 a[36:39], v53, s[24:27], 0 offen offset:1024// 000000004488: E05C1400 80862435
	s_waitcnt vmcnt(18)                                        // 000000004490: BF8C4F72
	v_mfma_scale_f32_16x16x128_f8f6f4 v[136:139], a[104:107], v[212:215], v[136:139], v38, v24 op_sel_hi:[0,0,0] cbsz:4 blgp:4// 000000004494: D3AC6000 18023126 D3AD0C88 8E23A968
	v_mfma_scale_f32_16x16x128_f8f6f4 v[168:171], a[104:107], v[220:223], v[168:171], v38, v24 op_sel_hi:[0,0,0] cbsz:4 blgp:4// 0000000044A4: D3AC7000 18023126 D3AD0CA8 8EA3B968
	buffer_load_dwordx4 a[40:43], v54, s[24:27], 0 offen offset:1024// 0000000044B4: E05C1400 80862836
	v_mfma_scale_f32_16x16x128_f8f6f4 v[140:143], a[108:111], v[212:215], v[140:143], v38, v24 op_sel_hi:[0,0,0] cbsz:4 blgp:4// 0000000044BC: D3AC6800 18023126 D3AD0C8C 8E33A96C
	v_mfma_scale_f32_16x16x128_f8f6f4 v[172:175], a[108:111], v[220:223], v[172:175], v38, v24 op_sel_hi:[0,0,0] cbsz:4 blgp:4// 0000000044CC: D3AC7800 18023126 D3AD0CAC 8EB3B96C
	buffer_load_dwordx4 a[44:47], v55, s[24:27], 0 offen offset:1024// 0000000044DC: E05C1400 80862C37
	s_waitcnt vmcnt(18)                                        // 0000000044E4: BF8C4F72
	v_mfma_scale_f32_16x16x128_f8f6f4 v[144:147], a[112:115], v[212:215], v[144:147], v39, v24 op_sel_hi:[0,0,0] cbsz:4 blgp:4// 0000000044E8: D3AC6000 18023127 D3AD0C90 8E43A970
	v_mfma_scale_f32_16x16x128_f8f6f4 v[176:179], a[112:115], v[220:223], v[176:179], v39, v24 op_sel_hi:[0,0,0] cbsz:4 blgp:4// 0000000044F8: D3AC7000 18023127 D3AD0CB0 8EC3B970
	buffer_load_dwordx4 a[48:51], v56, s[24:27], 0 offen offset:1024// 000000004508: E05C1400 80863038
	v_mfma_scale_f32_16x16x128_f8f6f4 v[148:151], a[116:119], v[212:215], v[148:151], v39, v24 op_sel_hi:[0,0,0] cbsz:4 blgp:4// 000000004510: D3AC6800 18023127 D3AD0C94 8E53A974
	v_mfma_scale_f32_16x16x128_f8f6f4 v[180:183], a[116:119], v[220:223], v[180:183], v39, v24 op_sel_hi:[0,0,0] cbsz:4 blgp:4// 000000004520: D3AC7800 18023127 D3AD0CB4 8ED3B974
	buffer_load_dwordx4 a[52:55], v57, s[24:27], 0 offen offset:1024// 000000004530: E05C1400 80863439
	s_waitcnt vmcnt(18)                                        // 000000004538: BF8C4F72
	v_mfma_scale_f32_16x16x128_f8f6f4 v[152:155], a[120:123], v[212:215], v[152:155], v40, v24 op_sel_hi:[0,0,0] cbsz:4 blgp:4// 00000000453C: D3AC6000 18023128 D3AD0C98 8E63A978
	v_mfma_scale_f32_16x16x128_f8f6f4 v[184:187], a[120:123], v[220:223], v[184:187], v40, v24 op_sel_hi:[0,0,0] cbsz:4 blgp:4// 00000000454C: D3AC7000 18023128 D3AD0CB8 8EE3B978
	buffer_load_dwordx4 a[56:59], v58, s[24:27], 0 offen offset:1024// 00000000455C: E05C1400 8086383A
	v_mfma_scale_f32_16x16x128_f8f6f4 v[156:159], a[124:127], v[212:215], v[156:159], v40, v24 op_sel_hi:[0,0,0] cbsz:4 blgp:4// 000000004564: D3AC6800 18023128 D3AD0C9C 8E73A97C
	v_mfma_scale_f32_16x16x128_f8f6f4 v[188:191], a[124:127], v[220:223], v[188:191], v40, v24 op_sel_hi:[0,0,0] cbsz:4 blgp:4// 000000004574: D3AC7800 18023128 D3AD0CBC 8EF3B97C
	buffer_load_dwordx4 a[60:63], v59, s[24:27], 0 offen offset:1024// 000000004584: E05C1400 80863C3B
	s_add_u32 s60, 0x200, s80                                  // 00000000458C: 803C50FF 00000200
	s_cmp_lt_u32 s60, s81                                      // 000000004594: BF0A513C
	s_cselect_b32 s57, s57, 0                                  // 000000004598: 85398039
	s_cselect_b32 s3, s3, 0                                    // 00000000459C: 85038003
	s_add_u32 s60, 0x200, s80                                  // 0000000045A0: 803C50FF 00000200
	s_cmp_lt_u32 s60, s81                                      // 0000000045A8: BF0A513C
	s_cselect_b32 s58, s58, 0                                  // 0000000045AC: 853A803A
	s_add_u32 s20, s57, s20                                    // 0000000045B0: 80141439
	s_addc_u32 s21, 0, s21                                     // 0000000045B4: 82151580
	s_add_u32 s28, s3, s28                                     // 0000000045B8: 801C1C03
	s_addc_u32 s29, 0, s29                                     // 0000000045BC: 821D1D80
	s_add_u32 s24, s58, s24                                    // 0000000045C0: 8018183A
	s_addc_u32 s25, 0, s25                                     // 0000000045C4: 82191980
	s_add_u32 s92, s90, s92                                    // 0000000045C8: 805C5C5A
	s_addc_u32 s93, 0, s93                                     // 0000000045CC: 825D5D80
	s_addk_i32 s80, 0x100                                      // 0000000045D0: B7500100
	s_cmp_lt_i32 s80, s81                                      // 0000000045D4: BF045150
	s_cbranch_scc0 label_05F8                                  // 0000000045D8: BF840001
	s_branch label_02E3                                        // 0000000045DC: BF82FCEB

00000000000045e0 <label_05F8>:
	s_mov_b32 s36, -1                                          // 0000000045E0: BEA400C1
	s_mov_b32 s37, -1                                          // 0000000045E4: BEA500C1
	s_mov_b64 s[60:61], 0                                      // 0000000045E8: BEBC0180
	s_cmp_lt_u32 s82, s66                                      // 0000000045EC: BF0A4252
	s_cselect_b64 s[20:21], s[36:37], s[60:61]                 // 0000000045F0: 85943C24
	s_cmp_lt_u32 s83, s66                                      // 0000000045F4: BF0A4253
	s_cselect_b64 s[22:23], s[36:37], s[60:61]                 // 0000000045F8: 85963C24
	s_cmp_lt_u32 s84, s66                                      // 0000000045FC: BF0A4254
	s_cselect_b64 s[24:25], s[36:37], s[60:61]                 // 000000004600: 85983C24
	s_cmp_lt_u32 s85, s66                                      // 000000004604: BF0A4255
	s_cselect_b64 s[26:27], s[36:37], s[60:61]                 // 000000004608: 859A3C24
	s_cmp_lt_u32 s86, s66                                      // 00000000460C: BF0A4256
	s_cselect_b64 s[28:29], s[36:37], s[60:61]                 // 000000004610: 859C3C24
	s_cmp_lt_u32 s87, s66                                      // 000000004614: BF0A4257
	s_cselect_b64 s[30:31], s[36:37], s[60:61]                 // 000000004618: 859E3C24
	s_cmp_lt_u32 s88, s66                                      // 00000000461C: BF0A4258
	s_cselect_b64 s[32:33], s[36:37], s[60:61]                 // 000000004620: 85A03C24
	s_cmp_lt_u32 s89, s66                                      // 000000004624: BF0A4259
	s_cselect_b64 s[34:35], s[36:37], s[60:61]                 // 000000004628: 85A23C24
	v_mov_b32_e32 v1, 0xbfcc4231                               // 00000000462C: 7E0202FF BFCC4231
	s_waitcnt vmcnt(14)                                        // 000000004634: BF8C0F7E
	buffer_load_dwordx4 a[0:3], v60, s[12:15], 0 offen         // 000000004638: E05C1000 8083003C
	v_mul_f32_e32 v2, v64, v64                                 // 000000004640: 0A048140
	v_mul_f32_e32 v3, v65, v65                                 // 000000004644: 0A068341
	v_mul_f32_e32 v4, v66, v66                                 // 000000004648: 0A088542
	v_mul_f32_e32 v5, v67, v67                                 // 00000000464C: 0A0A8743
	v_fma_f32 v2, v2, s77, v1                                  // 000000004650: D1CB0002 04049B02
	v_fma_f32 v3, v3, s77, v1                                  // 000000004658: D1CB0003 04049B03
	v_fma_f32 v4, v4, s77, v1                                  // 000000004660: D1CB0004 04049B04
	v_fma_f32 v5, v5, s77, v1                                  // 000000004668: D1CB0005 04049B05
	v_mul_f32_e32 v2, v2, v64                                  // 000000004670: 0A048102
	v_mul_f32_e32 v3, v3, v65                                  // 000000004674: 0A068303
	v_mul_f32_e32 v4, v4, v66                                  // 000000004678: 0A088504
	v_mul_f32_e32 v5, v5, v67                                  // 00000000467C: 0A0A8705
	v_mul_f32_e64 v2, v2, s6                                   // 000000004680: D1050002 00000D02
	v_mul_f32_e64 v3, v3, s6                                   // 000000004688: D1050003 00000D03
	v_mul_f32_e64 v4, v4, s6                                   // 000000004690: D1050004 00000D04
	v_mul_f32_e64 v5, v5, s6                                   // 000000004698: D1050005 00000D05
	v_exp_f32_e32 v2, v2                                       // 0000000046A0: 7E044102
	v_exp_f32_e32 v3, v3                                       // 0000000046A4: 7E064103
	v_exp_f32_e32 v4, v4                                       // 0000000046A8: 7E084104
	v_exp_f32_e32 v5, v5                                       // 0000000046AC: 7E0A4105
	buffer_load_dwordx4 a[4:7], v61, s[12:15], 0 offen         // 0000000046B0: E05C1000 8083043D
	v_add_f32_e64 v2, v2, 1.0                                  // 0000000046B8: D1010002 0001E502
	v_add_f32_e64 v3, v3, 1.0                                  // 0000000046C0: D1010003 0001E503
	v_add_f32_e64 v4, v4, 1.0                                  // 0000000046C8: D1010004 0001E504
	v_add_f32_e64 v5, v5, 1.0                                  // 0000000046D0: D1010005 0001E505
	v_rcp_f32_e32 v2, v2                                       // 0000000046D8: 7E044502
	v_rcp_f32_e32 v3, v3                                       // 0000000046DC: 7E064503
	v_rcp_f32_e32 v4, v4                                       // 0000000046E0: 7E084504
	v_rcp_f32_e32 v5, v5                                       // 0000000046E4: 7E0A4505
	v_mul_f32_e32 v64, v64, v2                                 // 0000000046E8: 0A800540
	v_mul_f32_e32 v65, v65, v3                                 // 0000000046EC: 0A820741
	v_mul_f32_e32 v66, v66, v4                                 // 0000000046F0: 0A840942
	v_mul_f32_e32 v67, v67, v5                                 // 0000000046F4: 0A860B43
	v_mul_f32_e32 v64, v64, v128                               // 0000000046F8: 0A810140
	v_mul_f32_e32 v65, v65, v129                               // 0000000046FC: 0A830341
	v_mul_f32_e32 v66, v66, v130                               // 000000004700: 0A850542
	v_mul_f32_e32 v67, v67, v131                               // 000000004704: 0A870743
	s_waitcnt vmcnt(14)                                        // 000000004708: BF8C0F7E
	buffer_load_dwordx4 a[8:11], v62, s[12:15], 0 offen        // 00000000470C: E05C1000 8083083E
	v_mul_f32_e32 v2, v68, v68                                 // 000000004714: 0A048944
	v_mul_f32_e32 v3, v69, v69                                 // 000000004718: 0A068B45
	v_mul_f32_e32 v4, v70, v70                                 // 00000000471C: 0A088D46
	v_mul_f32_e32 v5, v71, v71                                 // 000000004720: 0A0A8F47
	v_fma_f32 v2, v2, s77, v1                                  // 000000004724: D1CB0002 04049B02
	v_fma_f32 v3, v3, s77, v1                                  // 00000000472C: D1CB0003 04049B03
	v_fma_f32 v4, v4, s77, v1                                  // 000000004734: D1CB0004 04049B04
	v_fma_f32 v5, v5, s77, v1                                  // 00000000473C: D1CB0005 04049B05
	v_mul_f32_e32 v2, v2, v68                                  // 000000004744: 0A048902
	v_mul_f32_e32 v3, v3, v69                                  // 000000004748: 0A068B03
	v_mul_f32_e32 v4, v4, v70                                  // 00000000474C: 0A088D04
	v_mul_f32_e32 v5, v5, v71                                  // 000000004750: 0A0A8F05
	v_mul_f32_e64 v2, v2, s6                                   // 000000004754: D1050002 00000D02
	v_mul_f32_e64 v3, v3, s6                                   // 00000000475C: D1050003 00000D03
	v_mul_f32_e64 v4, v4, s6                                   // 000000004764: D1050004 00000D04
	v_mul_f32_e64 v5, v5, s6                                   // 00000000476C: D1050005 00000D05
	v_exp_f32_e32 v2, v2                                       // 000000004774: 7E044102
	v_exp_f32_e32 v3, v3                                       // 000000004778: 7E064103
	v_exp_f32_e32 v4, v4                                       // 00000000477C: 7E084104
	v_exp_f32_e32 v5, v5                                       // 000000004780: 7E0A4105
	buffer_load_dwordx4 a[12:15], v63, s[12:15], 0 offen       // 000000004784: E05C1000 80830C3F
	v_add_f32_e64 v2, v2, 1.0                                  // 00000000478C: D1010002 0001E502
	v_add_f32_e64 v3, v3, 1.0                                  // 000000004794: D1010003 0001E503
	v_add_f32_e64 v4, v4, 1.0                                  // 00000000479C: D1010004 0001E504
	v_add_f32_e64 v5, v5, 1.0                                  // 0000000047A4: D1010005 0001E505
	v_rcp_f32_e32 v2, v2                                       // 0000000047AC: 7E044502
	v_rcp_f32_e32 v3, v3                                       // 0000000047B0: 7E064503
	v_rcp_f32_e32 v4, v4                                       // 0000000047B4: 7E084504
	v_rcp_f32_e32 v5, v5                                       // 0000000047B8: 7E0A4505
	v_mul_f32_e32 v68, v68, v2                                 // 0000000047BC: 0A880544
	v_mul_f32_e32 v69, v69, v3                                 // 0000000047C0: 0A8A0745
	v_mul_f32_e32 v70, v70, v4                                 // 0000000047C4: 0A8C0946
	v_mul_f32_e32 v71, v71, v5                                 // 0000000047C8: 0A8E0B47
	v_mul_f32_e32 v68, v68, v132                               // 0000000047CC: 0A890944
	v_mul_f32_e32 v69, v69, v133                               // 0000000047D0: 0A8B0B45
	v_mul_f32_e32 v70, v70, v134                               // 0000000047D4: 0A8D0D46
	v_mul_f32_e32 v71, v71, v135                               // 0000000047D8: 0A8F0F47
	s_waitcnt vmcnt(14)                                        // 0000000047DC: BF8C0F7E
	buffer_load_dwordx4 a[16:19], v60, s[12:15], 0 offen offset:1024// 0000000047E0: E05C1400 8083103C
	v_mul_f32_e32 v2, v72, v72                                 // 0000000047E8: 0A049148
	v_mul_f32_e32 v3, v73, v73                                 // 0000000047EC: 0A069349
	v_mul_f32_e32 v4, v74, v74                                 // 0000000047F0: 0A08954A
	v_mul_f32_e32 v5, v75, v75                                 // 0000000047F4: 0A0A974B
	v_fma_f32 v2, v2, s77, v1                                  // 0000000047F8: D1CB0002 04049B02
	v_fma_f32 v3, v3, s77, v1                                  // 000000004800: D1CB0003 04049B03
	v_fma_f32 v4, v4, s77, v1                                  // 000000004808: D1CB0004 04049B04
	v_fma_f32 v5, v5, s77, v1                                  // 000000004810: D1CB0005 04049B05
	v_mul_f32_e32 v2, v2, v72                                  // 000000004818: 0A049102
	v_mul_f32_e32 v3, v3, v73                                  // 00000000481C: 0A069303
	v_mul_f32_e32 v4, v4, v74                                  // 000000004820: 0A089504
	v_mul_f32_e32 v5, v5, v75                                  // 000000004824: 0A0A9705
	v_mul_f32_e64 v2, v2, s6                                   // 000000004828: D1050002 00000D02
	v_mul_f32_e64 v3, v3, s6                                   // 000000004830: D1050003 00000D03
	v_mul_f32_e64 v4, v4, s6                                   // 000000004838: D1050004 00000D04
	v_mul_f32_e64 v5, v5, s6                                   // 000000004840: D1050005 00000D05
	v_exp_f32_e32 v2, v2                                       // 000000004848: 7E044102
	v_exp_f32_e32 v3, v3                                       // 00000000484C: 7E064103
	v_exp_f32_e32 v4, v4                                       // 000000004850: 7E084104
	v_exp_f32_e32 v5, v5                                       // 000000004854: 7E0A4105
	buffer_load_dwordx4 a[20:23], v61, s[12:15], 0 offen offset:1024// 000000004858: E05C1400 8083143D
	v_add_f32_e64 v2, v2, 1.0                                  // 000000004860: D1010002 0001E502
	v_add_f32_e64 v3, v3, 1.0                                  // 000000004868: D1010003 0001E503
	v_add_f32_e64 v4, v4, 1.0                                  // 000000004870: D1010004 0001E504
	v_add_f32_e64 v5, v5, 1.0                                  // 000000004878: D1010005 0001E505
	v_rcp_f32_e32 v2, v2                                       // 000000004880: 7E044502
	v_rcp_f32_e32 v3, v3                                       // 000000004884: 7E064503
	v_rcp_f32_e32 v4, v4                                       // 000000004888: 7E084504
	v_rcp_f32_e32 v5, v5                                       // 00000000488C: 7E0A4505
	v_mul_f32_e32 v72, v72, v2                                 // 000000004890: 0A900548
	v_mul_f32_e32 v73, v73, v3                                 // 000000004894: 0A920749
	v_mul_f32_e32 v74, v74, v4                                 // 000000004898: 0A94094A
	v_mul_f32_e32 v75, v75, v5                                 // 00000000489C: 0A960B4B
	v_mul_f32_e32 v72, v72, v136                               // 0000000048A0: 0A911148
	v_mul_f32_e32 v73, v73, v137                               // 0000000048A4: 0A931349
	v_mul_f32_e32 v74, v74, v138                               // 0000000048A8: 0A95154A
	v_mul_f32_e32 v75, v75, v139                               // 0000000048AC: 0A97174B
	s_waitcnt vmcnt(14)                                        // 0000000048B0: BF8C0F7E
	buffer_load_dwordx4 a[24:27], v62, s[12:15], 0 offen offset:1024// 0000000048B4: E05C1400 8083183E
	v_mul_f32_e32 v2, v76, v76                                 // 0000000048BC: 0A04994C
	v_mul_f32_e32 v3, v77, v77                                 // 0000000048C0: 0A069B4D
	v_mul_f32_e32 v4, v78, v78                                 // 0000000048C4: 0A089D4E
	v_mul_f32_e32 v5, v79, v79                                 // 0000000048C8: 0A0A9F4F
	v_fma_f32 v2, v2, s77, v1                                  // 0000000048CC: D1CB0002 04049B02
	v_fma_f32 v3, v3, s77, v1                                  // 0000000048D4: D1CB0003 04049B03
	v_fma_f32 v4, v4, s77, v1                                  // 0000000048DC: D1CB0004 04049B04
	v_fma_f32 v5, v5, s77, v1                                  // 0000000048E4: D1CB0005 04049B05
	v_mul_f32_e32 v2, v2, v76                                  // 0000000048EC: 0A049902
	v_mul_f32_e32 v3, v3, v77                                  // 0000000048F0: 0A069B03
	v_mul_f32_e32 v4, v4, v78                                  // 0000000048F4: 0A089D04
	v_mul_f32_e32 v5, v5, v79                                  // 0000000048F8: 0A0A9F05
	v_mul_f32_e64 v2, v2, s6                                   // 0000000048FC: D1050002 00000D02
	v_mul_f32_e64 v3, v3, s6                                   // 000000004904: D1050003 00000D03
	v_mul_f32_e64 v4, v4, s6                                   // 00000000490C: D1050004 00000D04
	v_mul_f32_e64 v5, v5, s6                                   // 000000004914: D1050005 00000D05
	v_exp_f32_e32 v2, v2                                       // 00000000491C: 7E044102
	v_exp_f32_e32 v3, v3                                       // 000000004920: 7E064103
	v_exp_f32_e32 v4, v4                                       // 000000004924: 7E084104
	v_exp_f32_e32 v5, v5                                       // 000000004928: 7E0A4105
	buffer_load_dwordx4 a[28:31], v63, s[12:15], 0 offen offset:1024// 00000000492C: E05C1400 80831C3F
	v_add_f32_e64 v2, v2, 1.0                                  // 000000004934: D1010002 0001E502
	v_add_f32_e64 v3, v3, 1.0                                  // 00000000493C: D1010003 0001E503
	v_add_f32_e64 v4, v4, 1.0                                  // 000000004944: D1010004 0001E504
	v_add_f32_e64 v5, v5, 1.0                                  // 00000000494C: D1010005 0001E505
	v_rcp_f32_e32 v2, v2                                       // 000000004954: 7E044502
	v_rcp_f32_e32 v3, v3                                       // 000000004958: 7E064503
	v_rcp_f32_e32 v4, v4                                       // 00000000495C: 7E084504
	v_rcp_f32_e32 v5, v5                                       // 000000004960: 7E0A4505
	v_mul_f32_e32 v76, v76, v2                                 // 000000004964: 0A98054C
	v_mul_f32_e32 v77, v77, v3                                 // 000000004968: 0A9A074D
	v_mul_f32_e32 v78, v78, v4                                 // 00000000496C: 0A9C094E
	v_mul_f32_e32 v79, v79, v5                                 // 000000004970: 0A9E0B4F
	v_mul_f32_e32 v76, v76, v140                               // 000000004974: 0A99194C
	v_mul_f32_e32 v77, v77, v141                               // 000000004978: 0A9B1B4D
	v_mul_f32_e32 v78, v78, v142                               // 00000000497C: 0A9D1D4E
	v_mul_f32_e32 v79, v79, v143                               // 000000004980: 0A9F1F4F
	s_waitcnt vmcnt(14)                                        // 000000004984: BF8C0F7E
	buffer_load_dwordx4 a[32:35], v60, s[12:15], 0 offen offset:2048// 000000004988: E05C1800 8083203C
	v_mul_f32_e32 v2, v80, v80                                 // 000000004990: 0A04A150
	v_mul_f32_e32 v3, v81, v81                                 // 000000004994: 0A06A351
	v_mul_f32_e32 v4, v82, v82                                 // 000000004998: 0A08A552
	v_mul_f32_e32 v5, v83, v83                                 // 00000000499C: 0A0AA753
	v_fma_f32 v2, v2, s77, v1                                  // 0000000049A0: D1CB0002 04049B02
	v_fma_f32 v3, v3, s77, v1                                  // 0000000049A8: D1CB0003 04049B03
	v_fma_f32 v4, v4, s77, v1                                  // 0000000049B0: D1CB0004 04049B04
	v_fma_f32 v5, v5, s77, v1                                  // 0000000049B8: D1CB0005 04049B05
	v_mul_f32_e32 v2, v2, v80                                  // 0000000049C0: 0A04A102
	v_mul_f32_e32 v3, v3, v81                                  // 0000000049C4: 0A06A303
	v_mul_f32_e32 v4, v4, v82                                  // 0000000049C8: 0A08A504
	v_mul_f32_e32 v5, v5, v83                                  // 0000000049CC: 0A0AA705
	v_mul_f32_e64 v2, v2, s6                                   // 0000000049D0: D1050002 00000D02
	v_mul_f32_e64 v3, v3, s6                                   // 0000000049D8: D1050003 00000D03
	v_mul_f32_e64 v4, v4, s6                                   // 0000000049E0: D1050004 00000D04
	v_mul_f32_e64 v5, v5, s6                                   // 0000000049E8: D1050005 00000D05
	v_exp_f32_e32 v2, v2                                       // 0000000049F0: 7E044102
	v_exp_f32_e32 v3, v3                                       // 0000000049F4: 7E064103
	v_exp_f32_e32 v4, v4                                       // 0000000049F8: 7E084104
	v_exp_f32_e32 v5, v5                                       // 0000000049FC: 7E0A4105
	buffer_load_dwordx4 a[36:39], v61, s[12:15], 0 offen offset:2048// 000000004A00: E05C1800 8083243D
	v_add_f32_e64 v2, v2, 1.0                                  // 000000004A08: D1010002 0001E502
	v_add_f32_e64 v3, v3, 1.0                                  // 000000004A10: D1010003 0001E503
	v_add_f32_e64 v4, v4, 1.0                                  // 000000004A18: D1010004 0001E504
	v_add_f32_e64 v5, v5, 1.0                                  // 000000004A20: D1010005 0001E505
	v_rcp_f32_e32 v2, v2                                       // 000000004A28: 7E044502
	v_rcp_f32_e32 v3, v3                                       // 000000004A2C: 7E064503
	v_rcp_f32_e32 v4, v4                                       // 000000004A30: 7E084504
	v_rcp_f32_e32 v5, v5                                       // 000000004A34: 7E0A4505
	v_mul_f32_e32 v80, v80, v2                                 // 000000004A38: 0AA00550
	v_mul_f32_e32 v81, v81, v3                                 // 000000004A3C: 0AA20751
	v_mul_f32_e32 v82, v82, v4                                 // 000000004A40: 0AA40952
	v_mul_f32_e32 v83, v83, v5                                 // 000000004A44: 0AA60B53
	v_mul_f32_e32 v80, v80, v144                               // 000000004A48: 0AA12150
	v_mul_f32_e32 v81, v81, v145                               // 000000004A4C: 0AA32351
	v_mul_f32_e32 v82, v82, v146                               // 000000004A50: 0AA52552
	v_mul_f32_e32 v83, v83, v147                               // 000000004A54: 0AA72753
	s_waitcnt vmcnt(14)                                        // 000000004A58: BF8C0F7E
	buffer_load_dwordx4 a[40:43], v62, s[12:15], 0 offen offset:2048// 000000004A5C: E05C1800 8083283E
	v_mul_f32_e32 v2, v84, v84                                 // 000000004A64: 0A04A954
	v_mul_f32_e32 v3, v85, v85                                 // 000000004A68: 0A06AB55
	v_mul_f32_e32 v4, v86, v86                                 // 000000004A6C: 0A08AD56
	v_mul_f32_e32 v5, v87, v87                                 // 000000004A70: 0A0AAF57
	v_fma_f32 v2, v2, s77, v1                                  // 000000004A74: D1CB0002 04049B02
	v_fma_f32 v3, v3, s77, v1                                  // 000000004A7C: D1CB0003 04049B03
	v_fma_f32 v4, v4, s77, v1                                  // 000000004A84: D1CB0004 04049B04
	v_fma_f32 v5, v5, s77, v1                                  // 000000004A8C: D1CB0005 04049B05
	v_mul_f32_e32 v2, v2, v84                                  // 000000004A94: 0A04A902
	v_mul_f32_e32 v3, v3, v85                                  // 000000004A98: 0A06AB03
	v_mul_f32_e32 v4, v4, v86                                  // 000000004A9C: 0A08AD04
	v_mul_f32_e32 v5, v5, v87                                  // 000000004AA0: 0A0AAF05
	v_mul_f32_e64 v2, v2, s6                                   // 000000004AA4: D1050002 00000D02
	v_mul_f32_e64 v3, v3, s6                                   // 000000004AAC: D1050003 00000D03
	v_mul_f32_e64 v4, v4, s6                                   // 000000004AB4: D1050004 00000D04
	v_mul_f32_e64 v5, v5, s6                                   // 000000004ABC: D1050005 00000D05
	v_exp_f32_e32 v2, v2                                       // 000000004AC4: 7E044102
	v_exp_f32_e32 v3, v3                                       // 000000004AC8: 7E064103
	v_exp_f32_e32 v4, v4                                       // 000000004ACC: 7E084104
	v_exp_f32_e32 v5, v5                                       // 000000004AD0: 7E0A4105
	buffer_load_dwordx4 a[44:47], v63, s[12:15], 0 offen offset:2048// 000000004AD4: E05C1800 80832C3F
	v_add_f32_e64 v2, v2, 1.0                                  // 000000004ADC: D1010002 0001E502
	v_add_f32_e64 v3, v3, 1.0                                  // 000000004AE4: D1010003 0001E503
	v_add_f32_e64 v4, v4, 1.0                                  // 000000004AEC: D1010004 0001E504
	v_add_f32_e64 v5, v5, 1.0                                  // 000000004AF4: D1010005 0001E505
	v_rcp_f32_e32 v2, v2                                       // 000000004AFC: 7E044502
	v_rcp_f32_e32 v3, v3                                       // 000000004B00: 7E064503
	v_rcp_f32_e32 v4, v4                                       // 000000004B04: 7E084504
	v_rcp_f32_e32 v5, v5                                       // 000000004B08: 7E0A4505
	v_mul_f32_e32 v84, v84, v2                                 // 000000004B0C: 0AA80554
	v_mul_f32_e32 v85, v85, v3                                 // 000000004B10: 0AAA0755
	v_mul_f32_e32 v86, v86, v4                                 // 000000004B14: 0AAC0956
	v_mul_f32_e32 v87, v87, v5                                 // 000000004B18: 0AAE0B57
	v_mul_f32_e32 v84, v84, v148                               // 000000004B1C: 0AA92954
	v_mul_f32_e32 v85, v85, v149                               // 000000004B20: 0AAB2B55
	v_mul_f32_e32 v86, v86, v150                               // 000000004B24: 0AAD2D56
	v_mul_f32_e32 v87, v87, v151                               // 000000004B28: 0AAF2F57
	s_waitcnt vmcnt(14)                                        // 000000004B2C: BF8C0F7E
	buffer_load_dwordx4 a[48:51], v60, s[12:15], 0 offen offset:3072// 000000004B30: E05C1C00 8083303C
	v_mul_f32_e32 v2, v88, v88                                 // 000000004B38: 0A04B158
	v_mul_f32_e32 v3, v89, v89                                 // 000000004B3C: 0A06B359
	v_mul_f32_e32 v4, v90, v90                                 // 000000004B40: 0A08B55A
	v_mul_f32_e32 v5, v91, v91                                 // 000000004B44: 0A0AB75B
	v_fma_f32 v2, v2, s77, v1                                  // 000000004B48: D1CB0002 04049B02
	v_fma_f32 v3, v3, s77, v1                                  // 000000004B50: D1CB0003 04049B03
	v_fma_f32 v4, v4, s77, v1                                  // 000000004B58: D1CB0004 04049B04
	v_fma_f32 v5, v5, s77, v1                                  // 000000004B60: D1CB0005 04049B05
	v_mul_f32_e32 v2, v2, v88                                  // 000000004B68: 0A04B102
	v_mul_f32_e32 v3, v3, v89                                  // 000000004B6C: 0A06B303
	v_mul_f32_e32 v4, v4, v90                                  // 000000004B70: 0A08B504
	v_mul_f32_e32 v5, v5, v91                                  // 000000004B74: 0A0AB705
	v_mul_f32_e64 v2, v2, s6                                   // 000000004B78: D1050002 00000D02
	v_mul_f32_e64 v3, v3, s6                                   // 000000004B80: D1050003 00000D03
	v_mul_f32_e64 v4, v4, s6                                   // 000000004B88: D1050004 00000D04
	v_mul_f32_e64 v5, v5, s6                                   // 000000004B90: D1050005 00000D05
	v_exp_f32_e32 v2, v2                                       // 000000004B98: 7E044102
	v_exp_f32_e32 v3, v3                                       // 000000004B9C: 7E064103
	v_exp_f32_e32 v4, v4                                       // 000000004BA0: 7E084104
	v_exp_f32_e32 v5, v5                                       // 000000004BA4: 7E0A4105
	buffer_load_dwordx4 a[52:55], v61, s[12:15], 0 offen offset:3072// 000000004BA8: E05C1C00 8083343D
	v_add_f32_e64 v2, v2, 1.0                                  // 000000004BB0: D1010002 0001E502
	v_add_f32_e64 v3, v3, 1.0                                  // 000000004BB8: D1010003 0001E503
	v_add_f32_e64 v4, v4, 1.0                                  // 000000004BC0: D1010004 0001E504
	v_add_f32_e64 v5, v5, 1.0                                  // 000000004BC8: D1010005 0001E505
	v_rcp_f32_e32 v2, v2                                       // 000000004BD0: 7E044502
	v_rcp_f32_e32 v3, v3                                       // 000000004BD4: 7E064503
	v_rcp_f32_e32 v4, v4                                       // 000000004BD8: 7E084504
	v_rcp_f32_e32 v5, v5                                       // 000000004BDC: 7E0A4505
	v_mul_f32_e32 v88, v88, v2                                 // 000000004BE0: 0AB00558
	v_mul_f32_e32 v89, v89, v3                                 // 000000004BE4: 0AB20759
	v_mul_f32_e32 v90, v90, v4                                 // 000000004BE8: 0AB4095A
	v_mul_f32_e32 v91, v91, v5                                 // 000000004BEC: 0AB60B5B
	v_mul_f32_e32 v88, v88, v152                               // 000000004BF0: 0AB13158
	v_mul_f32_e32 v89, v89, v153                               // 000000004BF4: 0AB33359
	v_mul_f32_e32 v90, v90, v154                               // 000000004BF8: 0AB5355A
	v_mul_f32_e32 v91, v91, v155                               // 000000004BFC: 0AB7375B
	s_waitcnt vmcnt(14)                                        // 000000004C00: BF8C0F7E
	buffer_load_dwordx4 a[56:59], v62, s[12:15], 0 offen offset:3072// 000000004C04: E05C1C00 8083383E
	v_mul_f32_e32 v2, v92, v92                                 // 000000004C0C: 0A04B95C
	v_mul_f32_e32 v3, v93, v93                                 // 000000004C10: 0A06BB5D
	v_mul_f32_e32 v4, v94, v94                                 // 000000004C14: 0A08BD5E
	v_mul_f32_e32 v5, v95, v95                                 // 000000004C18: 0A0ABF5F
	v_fma_f32 v2, v2, s77, v1                                  // 000000004C1C: D1CB0002 04049B02
	v_fma_f32 v3, v3, s77, v1                                  // 000000004C24: D1CB0003 04049B03
	v_fma_f32 v4, v4, s77, v1                                  // 000000004C2C: D1CB0004 04049B04
	v_fma_f32 v5, v5, s77, v1                                  // 000000004C34: D1CB0005 04049B05
	v_mul_f32_e32 v2, v2, v92                                  // 000000004C3C: 0A04B902
	v_mul_f32_e32 v3, v3, v93                                  // 000000004C40: 0A06BB03
	v_mul_f32_e32 v4, v4, v94                                  // 000000004C44: 0A08BD04
	v_mul_f32_e32 v5, v5, v95                                  // 000000004C48: 0A0ABF05
	v_mul_f32_e64 v2, v2, s6                                   // 000000004C4C: D1050002 00000D02
	v_mul_f32_e64 v3, v3, s6                                   // 000000004C54: D1050003 00000D03
	v_mul_f32_e64 v4, v4, s6                                   // 000000004C5C: D1050004 00000D04
	v_mul_f32_e64 v5, v5, s6                                   // 000000004C64: D1050005 00000D05
	v_exp_f32_e32 v2, v2                                       // 000000004C6C: 7E044102
	v_exp_f32_e32 v3, v3                                       // 000000004C70: 7E064103
	v_exp_f32_e32 v4, v4                                       // 000000004C74: 7E084104
	v_exp_f32_e32 v5, v5                                       // 000000004C78: 7E0A4105
	buffer_load_dwordx4 a[60:63], v63, s[12:15], 0 offen offset:3072// 000000004C7C: E05C1C00 80833C3F
	v_add_f32_e64 v2, v2, 1.0                                  // 000000004C84: D1010002 0001E502
	v_add_f32_e64 v3, v3, 1.0                                  // 000000004C8C: D1010003 0001E503
	v_add_f32_e64 v4, v4, 1.0                                  // 000000004C94: D1010004 0001E504
	v_add_f32_e64 v5, v5, 1.0                                  // 000000004C9C: D1010005 0001E505
	v_rcp_f32_e32 v2, v2                                       // 000000004CA4: 7E044502
	v_rcp_f32_e32 v3, v3                                       // 000000004CA8: 7E064503
	v_rcp_f32_e32 v4, v4                                       // 000000004CAC: 7E084504
	v_rcp_f32_e32 v5, v5                                       // 000000004CB0: 7E0A4505
	v_mul_f32_e32 v92, v92, v2                                 // 000000004CB4: 0AB8055C
	v_mul_f32_e32 v93, v93, v3                                 // 000000004CB8: 0ABA075D
	v_mul_f32_e32 v94, v94, v4                                 // 000000004CBC: 0ABC095E
	v_mul_f32_e32 v95, v95, v5                                 // 000000004CC0: 0ABE0B5F
	v_mul_f32_e32 v92, v92, v156                               // 000000004CC4: 0AB9395C
	v_mul_f32_e32 v93, v93, v157                               // 000000004CC8: 0ABB3B5D
	v_mul_f32_e32 v94, v94, v158                               // 000000004CCC: 0ABD3D5E
	v_mul_f32_e32 v95, v95, v159                               // 000000004CD0: 0ABF3F5F
	s_waitcnt vmcnt(14)                                        // 000000004CD4: BF8C0F7E
	v_mul_f32_e32 v2, v96, v96                                 // 000000004CD8: 0A04C160
	v_mul_f32_e32 v3, v97, v97                                 // 000000004CDC: 0A06C361
	v_mul_f32_e32 v4, v98, v98                                 // 000000004CE0: 0A08C562
	v_mul_f32_e32 v5, v99, v99                                 // 000000004CE4: 0A0AC763
	v_fma_f32 v2, v2, s77, v1                                  // 000000004CE8: D1CB0002 04049B02
	v_fma_f32 v3, v3, s77, v1                                  // 000000004CF0: D1CB0003 04049B03
	v_fma_f32 v4, v4, s77, v1                                  // 000000004CF8: D1CB0004 04049B04
	v_fma_f32 v5, v5, s77, v1                                  // 000000004D00: D1CB0005 04049B05
	v_mul_f32_e32 v2, v2, v96                                  // 000000004D08: 0A04C102
	v_mul_f32_e32 v3, v3, v97                                  // 000000004D0C: 0A06C303
	v_mul_f32_e32 v4, v4, v98                                  // 000000004D10: 0A08C504
	v_mul_f32_e32 v5, v5, v99                                  // 000000004D14: 0A0AC705
	v_mul_f32_e64 v2, v2, s6                                   // 000000004D18: D1050002 00000D02
	v_mul_f32_e64 v3, v3, s6                                   // 000000004D20: D1050003 00000D03
	v_mul_f32_e64 v4, v4, s6                                   // 000000004D28: D1050004 00000D04
	v_mul_f32_e64 v5, v5, s6                                   // 000000004D30: D1050005 00000D05
	v_exp_f32_e32 v2, v2                                       // 000000004D38: 7E044102
	v_exp_f32_e32 v3, v3                                       // 000000004D3C: 7E064103
	v_exp_f32_e32 v4, v4                                       // 000000004D40: 7E084104
	v_exp_f32_e32 v5, v5                                       // 000000004D44: 7E0A4105
	v_add_f32_e64 v2, v2, 1.0                                  // 000000004D48: D1010002 0001E502
	v_add_f32_e64 v3, v3, 1.0                                  // 000000004D50: D1010003 0001E503
	v_add_f32_e64 v4, v4, 1.0                                  // 000000004D58: D1010004 0001E504
	v_add_f32_e64 v5, v5, 1.0                                  // 000000004D60: D1010005 0001E505
	v_rcp_f32_e32 v2, v2                                       // 000000004D68: 7E044502
	v_rcp_f32_e32 v3, v3                                       // 000000004D6C: 7E064503
	v_rcp_f32_e32 v4, v4                                       // 000000004D70: 7E084504
	v_rcp_f32_e32 v5, v5                                       // 000000004D74: 7E0A4505
	v_mul_f32_e32 v96, v96, v2                                 // 000000004D78: 0AC00560
	v_mul_f32_e32 v97, v97, v3                                 // 000000004D7C: 0AC20761
	v_mul_f32_e32 v98, v98, v4                                 // 000000004D80: 0AC40962
	v_mul_f32_e32 v99, v99, v5                                 // 000000004D84: 0AC60B63
	v_mul_f32_e32 v96, v96, v160                               // 000000004D88: 0AC14160
	v_mul_f32_e32 v97, v97, v161                               // 000000004D8C: 0AC34361
	v_mul_f32_e32 v98, v98, v162                               // 000000004D90: 0AC54562
	v_mul_f32_e32 v99, v99, v163                               // 000000004D94: 0AC74763
	s_waitcnt vmcnt(14)                                        // 000000004D98: BF8C0F7E
	v_mul_f32_e32 v2, v100, v100                               // 000000004D9C: 0A04C964
	v_mul_f32_e32 v3, v101, v101                               // 000000004DA0: 0A06CB65
	v_mul_f32_e32 v4, v102, v102                               // 000000004DA4: 0A08CD66
	v_mul_f32_e32 v5, v103, v103                               // 000000004DA8: 0A0ACF67
	v_fma_f32 v2, v2, s77, v1                                  // 000000004DAC: D1CB0002 04049B02
	v_fma_f32 v3, v3, s77, v1                                  // 000000004DB4: D1CB0003 04049B03
	v_fma_f32 v4, v4, s77, v1                                  // 000000004DBC: D1CB0004 04049B04
	v_fma_f32 v5, v5, s77, v1                                  // 000000004DC4: D1CB0005 04049B05
	v_mul_f32_e32 v2, v2, v100                                 // 000000004DCC: 0A04C902
	v_mul_f32_e32 v3, v3, v101                                 // 000000004DD0: 0A06CB03
	v_mul_f32_e32 v4, v4, v102                                 // 000000004DD4: 0A08CD04
	v_mul_f32_e32 v5, v5, v103                                 // 000000004DD8: 0A0ACF05
	v_mul_f32_e64 v2, v2, s6                                   // 000000004DDC: D1050002 00000D02
	v_mul_f32_e64 v3, v3, s6                                   // 000000004DE4: D1050003 00000D03
	v_mul_f32_e64 v4, v4, s6                                   // 000000004DEC: D1050004 00000D04
	v_mul_f32_e64 v5, v5, s6                                   // 000000004DF4: D1050005 00000D05
	v_exp_f32_e32 v2, v2                                       // 000000004DFC: 7E044102
	v_exp_f32_e32 v3, v3                                       // 000000004E00: 7E064103
	v_exp_f32_e32 v4, v4                                       // 000000004E04: 7E084104
	v_exp_f32_e32 v5, v5                                       // 000000004E08: 7E0A4105
	v_add_f32_e64 v2, v2, 1.0                                  // 000000004E0C: D1010002 0001E502
	v_add_f32_e64 v3, v3, 1.0                                  // 000000004E14: D1010003 0001E503
	v_add_f32_e64 v4, v4, 1.0                                  // 000000004E1C: D1010004 0001E504
	v_add_f32_e64 v5, v5, 1.0                                  // 000000004E24: D1010005 0001E505
	v_rcp_f32_e32 v2, v2                                       // 000000004E2C: 7E044502
	v_rcp_f32_e32 v3, v3                                       // 000000004E30: 7E064503
	v_rcp_f32_e32 v4, v4                                       // 000000004E34: 7E084504
	v_rcp_f32_e32 v5, v5                                       // 000000004E38: 7E0A4505
	v_mul_f32_e32 v100, v100, v2                               // 000000004E3C: 0AC80564
	v_mul_f32_e32 v101, v101, v3                               // 000000004E40: 0ACA0765
	v_mul_f32_e32 v102, v102, v4                               // 000000004E44: 0ACC0966
	v_mul_f32_e32 v103, v103, v5                               // 000000004E48: 0ACE0B67
	v_mul_f32_e32 v100, v100, v164                             // 000000004E4C: 0AC94964
	v_mul_f32_e32 v101, v101, v165                             // 000000004E50: 0ACB4B65
	v_mul_f32_e32 v102, v102, v166                             // 000000004E54: 0ACD4D66
	v_mul_f32_e32 v103, v103, v167                             // 000000004E58: 0ACF4F67
	s_waitcnt vmcnt(14)                                        // 000000004E5C: BF8C0F7E
	v_mul_f32_e32 v2, v104, v104                               // 000000004E60: 0A04D168
	v_mul_f32_e32 v3, v105, v105                               // 000000004E64: 0A06D369
	v_mul_f32_e32 v4, v106, v106                               // 000000004E68: 0A08D56A
	v_mul_f32_e32 v5, v107, v107                               // 000000004E6C: 0A0AD76B
	v_fma_f32 v2, v2, s77, v1                                  // 000000004E70: D1CB0002 04049B02
	v_fma_f32 v3, v3, s77, v1                                  // 000000004E78: D1CB0003 04049B03
	v_fma_f32 v4, v4, s77, v1                                  // 000000004E80: D1CB0004 04049B04
	v_fma_f32 v5, v5, s77, v1                                  // 000000004E88: D1CB0005 04049B05
	v_mul_f32_e32 v2, v2, v104                                 // 000000004E90: 0A04D102
	v_mul_f32_e32 v3, v3, v105                                 // 000000004E94: 0A06D303
	v_mul_f32_e32 v4, v4, v106                                 // 000000004E98: 0A08D504
	v_mul_f32_e32 v5, v5, v107                                 // 000000004E9C: 0A0AD705
	v_mul_f32_e64 v2, v2, s6                                   // 000000004EA0: D1050002 00000D02
	v_mul_f32_e64 v3, v3, s6                                   // 000000004EA8: D1050003 00000D03
	v_mul_f32_e64 v4, v4, s6                                   // 000000004EB0: D1050004 00000D04
	v_mul_f32_e64 v5, v5, s6                                   // 000000004EB8: D1050005 00000D05
	v_exp_f32_e32 v2, v2                                       // 000000004EC0: 7E044102
	v_exp_f32_e32 v3, v3                                       // 000000004EC4: 7E064103
	v_exp_f32_e32 v4, v4                                       // 000000004EC8: 7E084104
	v_exp_f32_e32 v5, v5                                       // 000000004ECC: 7E0A4105
	v_add_f32_e64 v2, v2, 1.0                                  // 000000004ED0: D1010002 0001E502
	v_add_f32_e64 v3, v3, 1.0                                  // 000000004ED8: D1010003 0001E503
	v_add_f32_e64 v4, v4, 1.0                                  // 000000004EE0: D1010004 0001E504
	v_add_f32_e64 v5, v5, 1.0                                  // 000000004EE8: D1010005 0001E505
	v_rcp_f32_e32 v2, v2                                       // 000000004EF0: 7E044502
	v_rcp_f32_e32 v3, v3                                       // 000000004EF4: 7E064503
	v_rcp_f32_e32 v4, v4                                       // 000000004EF8: 7E084504
	v_rcp_f32_e32 v5, v5                                       // 000000004EFC: 7E0A4505
	v_mul_f32_e32 v104, v104, v2                               // 000000004F00: 0AD00568
	v_mul_f32_e32 v105, v105, v3                               // 000000004F04: 0AD20769
	v_mul_f32_e32 v106, v106, v4                               // 000000004F08: 0AD4096A
	v_mul_f32_e32 v107, v107, v5                               // 000000004F0C: 0AD60B6B
	v_mul_f32_e32 v104, v104, v168                             // 000000004F10: 0AD15168
	v_mul_f32_e32 v105, v105, v169                             // 000000004F14: 0AD35369
	v_mul_f32_e32 v106, v106, v170                             // 000000004F18: 0AD5556A
	v_mul_f32_e32 v107, v107, v171                             // 000000004F1C: 0AD7576B
	s_waitcnt vmcnt(14)                                        // 000000004F20: BF8C0F7E
	v_mul_f32_e32 v2, v108, v108                               // 000000004F24: 0A04D96C
	v_mul_f32_e32 v3, v109, v109                               // 000000004F28: 0A06DB6D
	v_mul_f32_e32 v4, v110, v110                               // 000000004F2C: 0A08DD6E
	v_mul_f32_e32 v5, v111, v111                               // 000000004F30: 0A0ADF6F
	v_fma_f32 v2, v2, s77, v1                                  // 000000004F34: D1CB0002 04049B02
	v_fma_f32 v3, v3, s77, v1                                  // 000000004F3C: D1CB0003 04049B03
	v_fma_f32 v4, v4, s77, v1                                  // 000000004F44: D1CB0004 04049B04
	v_fma_f32 v5, v5, s77, v1                                  // 000000004F4C: D1CB0005 04049B05
	v_mul_f32_e32 v2, v2, v108                                 // 000000004F54: 0A04D902
	v_mul_f32_e32 v3, v3, v109                                 // 000000004F58: 0A06DB03
	v_mul_f32_e32 v4, v4, v110                                 // 000000004F5C: 0A08DD04
	v_mul_f32_e32 v5, v5, v111                                 // 000000004F60: 0A0ADF05
	v_mul_f32_e64 v2, v2, s6                                   // 000000004F64: D1050002 00000D02
	v_mul_f32_e64 v3, v3, s6                                   // 000000004F6C: D1050003 00000D03
	v_mul_f32_e64 v4, v4, s6                                   // 000000004F74: D1050004 00000D04
	v_mul_f32_e64 v5, v5, s6                                   // 000000004F7C: D1050005 00000D05
	v_exp_f32_e32 v2, v2                                       // 000000004F84: 7E044102
	v_exp_f32_e32 v3, v3                                       // 000000004F88: 7E064103
	v_exp_f32_e32 v4, v4                                       // 000000004F8C: 7E084104
	v_exp_f32_e32 v5, v5                                       // 000000004F90: 7E0A4105
	v_add_f32_e64 v2, v2, 1.0                                  // 000000004F94: D1010002 0001E502
	v_add_f32_e64 v3, v3, 1.0                                  // 000000004F9C: D1010003 0001E503
	v_add_f32_e64 v4, v4, 1.0                                  // 000000004FA4: D1010004 0001E504
	v_add_f32_e64 v5, v5, 1.0                                  // 000000004FAC: D1010005 0001E505
	v_rcp_f32_e32 v2, v2                                       // 000000004FB4: 7E044502
	v_rcp_f32_e32 v3, v3                                       // 000000004FB8: 7E064503
	v_rcp_f32_e32 v4, v4                                       // 000000004FBC: 7E084504
	v_rcp_f32_e32 v5, v5                                       // 000000004FC0: 7E0A4505
	v_mul_f32_e32 v108, v108, v2                               // 000000004FC4: 0AD8056C
	v_mul_f32_e32 v109, v109, v3                               // 000000004FC8: 0ADA076D
	v_mul_f32_e32 v110, v110, v4                               // 000000004FCC: 0ADC096E
	v_mul_f32_e32 v111, v111, v5                               // 000000004FD0: 0ADE0B6F
	v_mul_f32_e32 v108, v108, v172                             // 000000004FD4: 0AD9596C
	v_mul_f32_e32 v109, v109, v173                             // 000000004FD8: 0ADB5B6D
	v_mul_f32_e32 v110, v110, v174                             // 000000004FDC: 0ADD5D6E
	v_mul_f32_e32 v111, v111, v175                             // 000000004FE0: 0ADF5F6F
	s_waitcnt vmcnt(14)                                        // 000000004FE4: BF8C0F7E
	v_mul_f32_e32 v2, v112, v112                               // 000000004FE8: 0A04E170
	v_mul_f32_e32 v3, v113, v113                               // 000000004FEC: 0A06E371
	v_mul_f32_e32 v4, v114, v114                               // 000000004FF0: 0A08E572
	v_mul_f32_e32 v5, v115, v115                               // 000000004FF4: 0A0AE773
	v_fma_f32 v2, v2, s77, v1                                  // 000000004FF8: D1CB0002 04049B02
	v_fma_f32 v3, v3, s77, v1                                  // 000000005000: D1CB0003 04049B03
	v_fma_f32 v4, v4, s77, v1                                  // 000000005008: D1CB0004 04049B04
	v_fma_f32 v5, v5, s77, v1                                  // 000000005010: D1CB0005 04049B05
	v_mul_f32_e32 v2, v2, v112                                 // 000000005018: 0A04E102
	v_mul_f32_e32 v3, v3, v113                                 // 00000000501C: 0A06E303
	v_mul_f32_e32 v4, v4, v114                                 // 000000005020: 0A08E504
	v_mul_f32_e32 v5, v5, v115                                 // 000000005024: 0A0AE705
	v_mul_f32_e64 v2, v2, s6                                   // 000000005028: D1050002 00000D02
	v_mul_f32_e64 v3, v3, s6                                   // 000000005030: D1050003 00000D03
	v_mul_f32_e64 v4, v4, s6                                   // 000000005038: D1050004 00000D04
	v_mul_f32_e64 v5, v5, s6                                   // 000000005040: D1050005 00000D05
	v_exp_f32_e32 v2, v2                                       // 000000005048: 7E044102
	v_exp_f32_e32 v3, v3                                       // 00000000504C: 7E064103
	v_exp_f32_e32 v4, v4                                       // 000000005050: 7E084104
	v_exp_f32_e32 v5, v5                                       // 000000005054: 7E0A4105
	v_add_f32_e64 v2, v2, 1.0                                  // 000000005058: D1010002 0001E502
	v_add_f32_e64 v3, v3, 1.0                                  // 000000005060: D1010003 0001E503
	v_add_f32_e64 v4, v4, 1.0                                  // 000000005068: D1010004 0001E504
	v_add_f32_e64 v5, v5, 1.0                                  // 000000005070: D1010005 0001E505
	v_rcp_f32_e32 v2, v2                                       // 000000005078: 7E044502
	v_rcp_f32_e32 v3, v3                                       // 00000000507C: 7E064503
	v_rcp_f32_e32 v4, v4                                       // 000000005080: 7E084504
	v_rcp_f32_e32 v5, v5                                       // 000000005084: 7E0A4505
	v_mul_f32_e32 v112, v112, v2                               // 000000005088: 0AE00570
	v_mul_f32_e32 v113, v113, v3                               // 00000000508C: 0AE20771
	v_mul_f32_e32 v114, v114, v4                               // 000000005090: 0AE40972
	v_mul_f32_e32 v115, v115, v5                               // 000000005094: 0AE60B73
	v_mul_f32_e32 v112, v112, v176                             // 000000005098: 0AE16170
	v_mul_f32_e32 v113, v113, v177                             // 00000000509C: 0AE36371
	v_mul_f32_e32 v114, v114, v178                             // 0000000050A0: 0AE56572
	v_mul_f32_e32 v115, v115, v179                             // 0000000050A4: 0AE76773
	s_waitcnt vmcnt(14)                                        // 0000000050A8: BF8C0F7E
	v_mul_f32_e32 v2, v116, v116                               // 0000000050AC: 0A04E974
	v_mul_f32_e32 v3, v117, v117                               // 0000000050B0: 0A06EB75
	v_mul_f32_e32 v4, v118, v118                               // 0000000050B4: 0A08ED76
	v_mul_f32_e32 v5, v119, v119                               // 0000000050B8: 0A0AEF77
	v_fma_f32 v2, v2, s77, v1                                  // 0000000050BC: D1CB0002 04049B02
	v_fma_f32 v3, v3, s77, v1                                  // 0000000050C4: D1CB0003 04049B03
	v_fma_f32 v4, v4, s77, v1                                  // 0000000050CC: D1CB0004 04049B04
	v_fma_f32 v5, v5, s77, v1                                  // 0000000050D4: D1CB0005 04049B05
	v_mul_f32_e32 v2, v2, v116                                 // 0000000050DC: 0A04E902
	v_mul_f32_e32 v3, v3, v117                                 // 0000000050E0: 0A06EB03
	v_mul_f32_e32 v4, v4, v118                                 // 0000000050E4: 0A08ED04
	v_mul_f32_e32 v5, v5, v119                                 // 0000000050E8: 0A0AEF05
	v_mul_f32_e64 v2, v2, s6                                   // 0000000050EC: D1050002 00000D02
	v_mul_f32_e64 v3, v3, s6                                   // 0000000050F4: D1050003 00000D03
	v_mul_f32_e64 v4, v4, s6                                   // 0000000050FC: D1050004 00000D04
	v_mul_f32_e64 v5, v5, s6                                   // 000000005104: D1050005 00000D05
	v_exp_f32_e32 v2, v2                                       // 00000000510C: 7E044102
	v_exp_f32_e32 v3, v3                                       // 000000005110: 7E064103
	v_exp_f32_e32 v4, v4                                       // 000000005114: 7E084104
	v_exp_f32_e32 v5, v5                                       // 000000005118: 7E0A4105
	v_add_f32_e64 v2, v2, 1.0                                  // 00000000511C: D1010002 0001E502
	v_add_f32_e64 v3, v3, 1.0                                  // 000000005124: D1010003 0001E503
	v_add_f32_e64 v4, v4, 1.0                                  // 00000000512C: D1010004 0001E504
	v_add_f32_e64 v5, v5, 1.0                                  // 000000005134: D1010005 0001E505
	v_rcp_f32_e32 v2, v2                                       // 00000000513C: 7E044502
	v_rcp_f32_e32 v3, v3                                       // 000000005140: 7E064503
	v_rcp_f32_e32 v4, v4                                       // 000000005144: 7E084504
	v_rcp_f32_e32 v5, v5                                       // 000000005148: 7E0A4505
	v_mul_f32_e32 v116, v116, v2                               // 00000000514C: 0AE80574
	v_mul_f32_e32 v117, v117, v3                               // 000000005150: 0AEA0775
	v_mul_f32_e32 v118, v118, v4                               // 000000005154: 0AEC0976
	v_mul_f32_e32 v119, v119, v5                               // 000000005158: 0AEE0B77
	v_mul_f32_e32 v116, v116, v180                             // 00000000515C: 0AE96974
	v_mul_f32_e32 v117, v117, v181                             // 000000005160: 0AEB6B75
	v_mul_f32_e32 v118, v118, v182                             // 000000005164: 0AED6D76
	v_mul_f32_e32 v119, v119, v183                             // 000000005168: 0AEF6F77
	s_waitcnt vmcnt(14)                                        // 00000000516C: BF8C0F7E
	v_mul_f32_e32 v2, v120, v120                               // 000000005170: 0A04F178
	v_mul_f32_e32 v3, v121, v121                               // 000000005174: 0A06F379
	v_mul_f32_e32 v4, v122, v122                               // 000000005178: 0A08F57A
	v_mul_f32_e32 v5, v123, v123                               // 00000000517C: 0A0AF77B
	v_fma_f32 v2, v2, s77, v1                                  // 000000005180: D1CB0002 04049B02
	v_fma_f32 v3, v3, s77, v1                                  // 000000005188: D1CB0003 04049B03
	v_fma_f32 v4, v4, s77, v1                                  // 000000005190: D1CB0004 04049B04
	v_fma_f32 v5, v5, s77, v1                                  // 000000005198: D1CB0005 04049B05
	v_mul_f32_e32 v2, v2, v120                                 // 0000000051A0: 0A04F102
	v_mul_f32_e32 v3, v3, v121                                 // 0000000051A4: 0A06F303
	v_mul_f32_e32 v4, v4, v122                                 // 0000000051A8: 0A08F504
	v_mul_f32_e32 v5, v5, v123                                 // 0000000051AC: 0A0AF705
	v_mul_f32_e64 v2, v2, s6                                   // 0000000051B0: D1050002 00000D02
	v_mul_f32_e64 v3, v3, s6                                   // 0000000051B8: D1050003 00000D03
	v_mul_f32_e64 v4, v4, s6                                   // 0000000051C0: D1050004 00000D04
	v_mul_f32_e64 v5, v5, s6                                   // 0000000051C8: D1050005 00000D05
	v_exp_f32_e32 v2, v2                                       // 0000000051D0: 7E044102
	v_exp_f32_e32 v3, v3                                       // 0000000051D4: 7E064103
	v_exp_f32_e32 v4, v4                                       // 0000000051D8: 7E084104
	v_exp_f32_e32 v5, v5                                       // 0000000051DC: 7E0A4105
	v_add_f32_e64 v2, v2, 1.0                                  // 0000000051E0: D1010002 0001E502
	v_add_f32_e64 v3, v3, 1.0                                  // 0000000051E8: D1010003 0001E503
	v_add_f32_e64 v4, v4, 1.0                                  // 0000000051F0: D1010004 0001E504
	v_add_f32_e64 v5, v5, 1.0                                  // 0000000051F8: D1010005 0001E505
	v_rcp_f32_e32 v2, v2                                       // 000000005200: 7E044502
	v_rcp_f32_e32 v3, v3                                       // 000000005204: 7E064503
	v_rcp_f32_e32 v4, v4                                       // 000000005208: 7E084504
	v_rcp_f32_e32 v5, v5                                       // 00000000520C: 7E0A4505
	v_mul_f32_e32 v120, v120, v2                               // 000000005210: 0AF00578
	v_mul_f32_e32 v121, v121, v3                               // 000000005214: 0AF20779
	v_mul_f32_e32 v122, v122, v4                               // 000000005218: 0AF4097A
	v_mul_f32_e32 v123, v123, v5                               // 00000000521C: 0AF60B7B
	v_mul_f32_e32 v120, v120, v184                             // 000000005220: 0AF17178
	v_mul_f32_e32 v121, v121, v185                             // 000000005224: 0AF37379
	v_mul_f32_e32 v122, v122, v186                             // 000000005228: 0AF5757A
	v_mul_f32_e32 v123, v123, v187                             // 00000000522C: 0AF7777B
	s_waitcnt vmcnt(14)                                        // 000000005230: BF8C0F7E
	v_mul_f32_e32 v2, v124, v124                               // 000000005234: 0A04F97C
	v_mul_f32_e32 v3, v125, v125                               // 000000005238: 0A06FB7D
	v_mul_f32_e32 v4, v126, v126                               // 00000000523C: 0A08FD7E
	v_mul_f32_e32 v5, v127, v127                               // 000000005240: 0A0AFF7F
	v_fma_f32 v2, v2, s77, v1                                  // 000000005244: D1CB0002 04049B02
	v_fma_f32 v3, v3, s77, v1                                  // 00000000524C: D1CB0003 04049B03
	v_fma_f32 v4, v4, s77, v1                                  // 000000005254: D1CB0004 04049B04
	v_fma_f32 v5, v5, s77, v1                                  // 00000000525C: D1CB0005 04049B05
	v_mul_f32_e32 v2, v2, v124                                 // 000000005264: 0A04F902
	v_mul_f32_e32 v3, v3, v125                                 // 000000005268: 0A06FB03
	v_mul_f32_e32 v4, v4, v126                                 // 00000000526C: 0A08FD04
	v_mul_f32_e32 v5, v5, v127                                 // 000000005270: 0A0AFF05
	v_mul_f32_e64 v2, v2, s6                                   // 000000005274: D1050002 00000D02
	v_mul_f32_e64 v3, v3, s6                                   // 00000000527C: D1050003 00000D03
	v_mul_f32_e64 v4, v4, s6                                   // 000000005284: D1050004 00000D04
	v_mul_f32_e64 v5, v5, s6                                   // 00000000528C: D1050005 00000D05
	v_exp_f32_e32 v2, v2                                       // 000000005294: 7E044102
	v_exp_f32_e32 v3, v3                                       // 000000005298: 7E064103
	v_exp_f32_e32 v4, v4                                       // 00000000529C: 7E084104
	v_exp_f32_e32 v5, v5                                       // 0000000052A0: 7E0A4105
	v_add_f32_e64 v2, v2, 1.0                                  // 0000000052A4: D1010002 0001E502
	v_add_f32_e64 v3, v3, 1.0                                  // 0000000052AC: D1010003 0001E503
	v_add_f32_e64 v4, v4, 1.0                                  // 0000000052B4: D1010004 0001E504
	v_add_f32_e64 v5, v5, 1.0                                  // 0000000052BC: D1010005 0001E505
	v_rcp_f32_e32 v2, v2                                       // 0000000052C4: 7E044502
	v_rcp_f32_e32 v3, v3                                       // 0000000052C8: 7E064503
	v_rcp_f32_e32 v4, v4                                       // 0000000052CC: 7E084504
	v_rcp_f32_e32 v5, v5                                       // 0000000052D0: 7E0A4505
	v_mul_f32_e32 v124, v124, v2                               // 0000000052D4: 0AF8057C
	v_mul_f32_e32 v125, v125, v3                               // 0000000052D8: 0AFA077D
	v_mul_f32_e32 v126, v126, v4                               // 0000000052DC: 0AFC097E
	v_mul_f32_e32 v127, v127, v5                               // 0000000052E0: 0AFE0B7F
	v_mul_f32_e32 v124, v124, v188                             // 0000000052E4: 0AF9797C
	v_mul_f32_e32 v125, v125, v189                             // 0000000052E8: 0AFB7B7D
	v_mul_f32_e32 v126, v126, v190                             // 0000000052EC: 0AFD7D7E
	v_mul_f32_e32 v127, v127, v191                             // 0000000052F0: 0AFF7F7F
	v_lshlrev_b32_e32 v2, 2, v0                                // 0000000052F4: 24040082
	s_mul_i32 s60, s82, s71                                    // 0000000052F8: 923C4752
	v_add_u32_e64 v144, v2, s60                                // 0000000052FC: D1340090 00007902
	v_mov_b32_e32 v145, 0                                      // 000000005304: 7F220280
	s_mul_i32 s60, s83, s71                                    // 000000005308: 923C4753
	v_add_u32_e64 v146, v2, s60                                // 00000000530C: D1340092 00007902
	v_mov_b32_e32 v147, 0                                      // 000000005314: 7F260280
	s_mul_i32 s60, s84, s71                                    // 000000005318: 923C4754
	v_add_u32_e64 v148, v2, s60                                // 00000000531C: D1340094 00007902
	v_mov_b32_e32 v149, 0                                      // 000000005324: 7F2A0280
	s_mul_i32 s60, s85, s71                                    // 000000005328: 923C4755
	v_add_u32_e64 v150, v2, s60                                // 00000000532C: D1340096 00007902
	v_mov_b32_e32 v151, 0                                      // 000000005334: 7F2E0280
	s_mul_i32 s60, s86, s71                                    // 000000005338: 923C4756
	v_add_u32_e64 v152, v2, s60                                // 00000000533C: D1340098 00007902
	v_mov_b32_e32 v153, 0                                      // 000000005344: 7F320280
	s_mul_i32 s60, s87, s71                                    // 000000005348: 923C4757
	v_add_u32_e64 v154, v2, s60                                // 00000000534C: D134009A 00007902
	v_mov_b32_e32 v155, 0                                      // 000000005354: 7F360280
	s_mul_i32 s60, s88, s71                                    // 000000005358: 923C4758
	v_add_u32_e64 v156, v2, s60                                // 00000000535C: D134009C 00007902
	v_mov_b32_e32 v157, 0                                      // 000000005364: 7F3A0280
	s_mul_i32 s60, s89, s71                                    // 000000005368: 923C4759
	v_add_u32_e64 v158, v2, s60                                // 00000000536C: D134009E 00007902
	v_mov_b32_e32 v159, 0                                      // 000000005374: 7F3E0280
	buffer_load_dword v25, v10, s[16:19], 0 offen              // 000000005378: E0501000 8004190A
	buffer_load_dword v26, v11, s[16:19], 0 offen              // 000000005380: E0501000 80041A0B
	buffer_load_dword v27, v10, s[16:19], 0 offen offset:256   // 000000005388: E0501100 80041B0A
	buffer_load_dword v28, v11, s[16:19], 0 offen offset:256   // 000000005390: E0501100 80041C0B
	v_mov_b32_e32 v43, 0x358637bd                              // 000000005398: 7E5602FF 358637BD
	v_mov_b32_e32 v44, 0x358637bd                              // 0000000053A0: 7E5802FF 358637BD
	v_max3_f32 v43, |v64|, |v65|, v43                          // 0000000053A8: D1D3032B 04AE8340
	v_max3_f32 v43, |v66|, |v67|, v43                          // 0000000053B0: D1D3032B 04AE8742
	v_max3_f32 v43, |v68|, |v69|, v43                          // 0000000053B8: D1D3032B 04AE8B44
	v_max3_f32 v43, |v70|, |v71|, v43                          // 0000000053C0: D1D3032B 04AE8F46
	v_max3_f32 v44, |v96|, |v97|, v44                          // 0000000053C8: D1D3032C 04B2C360
	v_max3_f32 v44, |v98|, |v99|, v44                          // 0000000053D0: D1D3032C 04B2C762
	v_max3_f32 v44, |v100|, |v101|, v44                        // 0000000053D8: D1D3032C 04B2CB64
	v_max3_f32 v44, |v102|, |v103|, v44                        // 0000000053E0: D1D3032C 04B2CF66
	v_mov_b32_e32 v2, v43                                      // 0000000053E8: 7E04032B
	s_nop 1                                                    // 0000000053EC: BF800001
	v_permlane32_swap_b32_e32 v2, v43                          // 0000000053F0: 7E04B52B
	v_max_f32_e32 v43, v2, v43                                 // 0000000053F4: 16565702
	v_mov_b32_e32 v2, v43                                      // 0000000053F8: 7E04032B
	s_nop 1                                                    // 0000000053FC: BF800001
	v_permlane16_swap_b32_e32 v2, v43                          // 000000005400: 7E04B32B
	v_max_f32_e32 v43, v2, v43                                 // 000000005404: 16565702
	v_mov_b32_e32 v2, v44                                      // 000000005408: 7E04032C
	s_nop 1                                                    // 00000000540C: BF800001
	v_permlane32_swap_b32_e32 v2, v44                          // 000000005410: 7E04B52C
	v_max_f32_e32 v44, v2, v44                                 // 000000005414: 16585902
	v_mov_b32_e32 v2, v44                                      // 000000005418: 7E04032C
	s_nop 1                                                    // 00000000541C: BF800001
	v_permlane16_swap_b32_e32 v2, v44                          // 000000005420: 7E04B32C
	v_max_f32_e32 v44, v2, v44                                 // 000000005424: 16585902
	v_mov_b32_e32 v2, 0x3e800000                               // 000000005428: 7E0402FF 3E800000
	v_mul_f32_e32 v43, v2, v43                                 // 000000005430: 0A565702
	v_mul_f32_e32 v44, v2, v44                                 // 000000005434: 0A585902
	v_mov_b32_e32 v1, 0x7fff0000                               // 000000005438: 7E0202FF 7FFF0000
	v_mov_b32_e32 v5, 0x7fbfffff                               // 000000005440: 7E0A02FF 7FBFFFFF
	v_bfe_u32 v2, v43, 22, 1                                   // 000000005448: D1C80002 02052D2B
	v_and_b32_e32 v3, v43, v5                                  // 000000005450: 26060B2B
	v_cmp_eq_u32_e64 s[60:61], v3, 0                           // 000000005454: D0CA003C 00010103
	v_cndmask_b32_e64 v4, 1, 0, s[60:61]                       // 00000000545C: D1000004 00F10081
	v_and_b32_e32 v4, v4, v2                                   // 000000005464: 26080504
	v_bfe_u32 v5, v43, 23, 8                                   // 000000005468: D1C80005 02212F2B
	v_add_u32_e32 v5, v5, v4                                   // 000000005470: 680A0905
	v_cmp_u_f32_e64 s[60:61], v43, v43                         // 000000005474: D048003C 0002572B
	v_lshlrev_b32_e32 v43, 23, v5                              // 00000000547C: 24560A97
	v_cndmask_b32_e64 v43, v43, v1, s[60:61]                   // 000000005480: D100002B 00F2032B
	v_mov_b32_e32 v5, 0x7fbfffff                               // 000000005488: 7E0A02FF 7FBFFFFF
	v_bfe_u32 v2, v44, 22, 1                                   // 000000005490: D1C80002 02052D2C
	v_and_b32_e32 v3, v44, v5                                  // 000000005498: 26060B2C
	v_cmp_eq_u32_e64 s[60:61], v3, 0                           // 00000000549C: D0CA003C 00010103
	v_cndmask_b32_e64 v4, 1, 0, s[60:61]                       // 0000000054A4: D1000004 00F10081
	v_and_b32_e32 v4, v4, v2                                   // 0000000054AC: 26080504
	v_bfe_u32 v5, v44, 23, 8                                   // 0000000054B0: D1C80005 02212F2C
	v_add_u32_e32 v5, v5, v4                                   // 0000000054B8: 680A0905
	v_cmp_u_f32_e64 s[60:61], v44, v44                         // 0000000054BC: D048003C 0002592C
	v_lshlrev_b32_e32 v44, 23, v5                              // 0000000054C4: 24580A97
	v_cndmask_b32_e64 v44, v44, v1, s[60:61]                   // 0000000054C8: D100002C 00F2032C
	s_mov_b32 s60, 0xffff                                      // 0000000054D0: BEBC00FF 0000FFFF
	v_cvt_scalef32_pk_fp4_f32 v64, v64, v65, v43               // 0000000054D8: D23D0040 04AE8340
	v_cvt_scalef32_pk_fp4_f32 v64, v66, v67, v43 op_sel:[0,0,1,0]// 0000000054E0: D23D2040 04AE8742
	v_cvt_scalef32_pk_fp4_f32 v68, v68, v69, v43               // 0000000054E8: D23D0044 04AE8B44
	v_cvt_scalef32_pk_fp4_f32 v68, v70, v71, v43 op_sel:[0,0,1,0]// 0000000054F0: D23D2044 04AE8F46
	s_nop 1                                                    // 0000000054F8: BF800001
	v_permlane16_swap_b32_e32 v64, v68                         // 0000000054FC: 7E80B344
	s_nop 1                                                    // 000000005500: BF800001
	v_and_b32_e64 v64, v64, s60                                // 000000005504: D1130040 00007940
	v_lshlrev_b32_e32 v68, 16, v68                             // 00000000550C: 24888890
	v_or_b32_e32 v64, v64, v68                                 // 000000005510: 28808940
	v_mov_b32_e32 v68, v64                                     // 000000005514: 7E880340
	s_nop 1                                                    // 000000005518: BF800001
	v_permlane32_swap_b32_e32 v64, v68                         // 00000000551C: 7E80B544
	s_nop 1                                                    // 000000005520: BF800001
	v_permlane16_swap_b32_e32 v64, v68                         // 000000005524: 7E80B344
	s_nop 1                                                    // 000000005528: BF800001
	v_permlane32_swap_b32_e32 v64, v68                         // 00000000552C: 7E80B544
	s_nop 1                                                    // 000000005530: BF800001
	v_cvt_scalef32_pk_fp4_f32 v96, v96, v97, v44               // 000000005534: D23D0060 04B2C360
	v_cvt_scalef32_pk_fp4_f32 v96, v98, v99, v44 op_sel:[0,0,1,0]// 00000000553C: D23D2060 04B2C762
	v_cvt_scalef32_pk_fp4_f32 v100, v100, v101, v44            // 000000005544: D23D0064 04B2CB64
	v_cvt_scalef32_pk_fp4_f32 v100, v102, v103, v44 op_sel:[0,0,1,0]// 00000000554C: D23D2064 04B2CF66
	s_nop 1                                                    // 000000005554: BF800001
	v_permlane16_swap_b32_e32 v96, v100                        // 000000005558: 7EC0B364
	s_nop 1                                                    // 00000000555C: BF800001
	v_and_b32_e64 v96, v96, s60                                // 000000005560: D1130060 00007960
	v_lshlrev_b32_e32 v100, 16, v100                           // 000000005568: 24C8C890
	v_or_b32_e32 v96, v96, v100                                // 00000000556C: 28C0C960
	v_mov_b32_e32 v100, v96                                    // 000000005570: 7EC80360
	s_nop 1                                                    // 000000005574: BF800001
	v_permlane32_swap_b32_e32 v96, v100                        // 000000005578: 7EC0B564
	s_nop 1                                                    // 00000000557C: BF800001
	v_permlane16_swap_b32_e32 v96, v100                        // 000000005580: 7EC0B364
	s_nop 1                                                    // 000000005584: BF800001
	v_permlane32_swap_b32_e32 v96, v100                        // 000000005588: 7EC0B564
	s_nop 1                                                    // 00000000558C: BF800001
	v_mov_b32_e32 v45, 0x358637bd                              // 000000005590: 7E5A02FF 358637BD
	v_mov_b32_e32 v46, 0x358637bd                              // 000000005598: 7E5C02FF 358637BD
	v_max3_f32 v45, |v72|, |v73|, v45                          // 0000000055A0: D1D3032D 04B69348
	v_max3_f32 v45, |v74|, |v75|, v45                          // 0000000055A8: D1D3032D 04B6974A
	v_max3_f32 v45, |v76|, |v77|, v45                          // 0000000055B0: D1D3032D 04B69B4C
	v_max3_f32 v45, |v78|, |v79|, v45                          // 0000000055B8: D1D3032D 04B69F4E
	v_max3_f32 v46, |v104|, |v105|, v46                        // 0000000055C0: D1D3032E 04BAD368
	v_max3_f32 v46, |v106|, |v107|, v46                        // 0000000055C8: D1D3032E 04BAD76A
	v_max3_f32 v46, |v108|, |v109|, v46                        // 0000000055D0: D1D3032E 04BADB6C
	v_max3_f32 v46, |v110|, |v111|, v46                        // 0000000055D8: D1D3032E 04BADF6E
	v_mov_b32_e32 v2, v45                                      // 0000000055E0: 7E04032D
	s_nop 1                                                    // 0000000055E4: BF800001
	v_permlane32_swap_b32_e32 v2, v45                          // 0000000055E8: 7E04B52D
	v_max_f32_e32 v45, v2, v45                                 // 0000000055EC: 165A5B02
	v_mov_b32_e32 v2, v45                                      // 0000000055F0: 7E04032D
	s_nop 1                                                    // 0000000055F4: BF800001
	v_permlane16_swap_b32_e32 v2, v45                          // 0000000055F8: 7E04B32D
	v_max_f32_e32 v45, v2, v45                                 // 0000000055FC: 165A5B02
	v_mov_b32_e32 v2, v46                                      // 000000005600: 7E04032E
	s_nop 1                                                    // 000000005604: BF800001
	v_permlane32_swap_b32_e32 v2, v46                          // 000000005608: 7E04B52E
	v_max_f32_e32 v46, v2, v46                                 // 00000000560C: 165C5D02
	v_mov_b32_e32 v2, v46                                      // 000000005610: 7E04032E
	s_nop 1                                                    // 000000005614: BF800001
	v_permlane16_swap_b32_e32 v2, v46                          // 000000005618: 7E04B32E
	v_max_f32_e32 v46, v2, v46                                 // 00000000561C: 165C5D02
	v_mov_b32_e32 v2, 0x3e800000                               // 000000005620: 7E0402FF 3E800000
	v_mul_f32_e32 v45, v2, v45                                 // 000000005628: 0A5A5B02
	v_mul_f32_e32 v46, v2, v46                                 // 00000000562C: 0A5C5D02
	v_mov_b32_e32 v1, 0x7fff0000                               // 000000005630: 7E0202FF 7FFF0000
	v_mov_b32_e32 v5, 0x7fbfffff                               // 000000005638: 7E0A02FF 7FBFFFFF
	v_bfe_u32 v2, v45, 22, 1                                   // 000000005640: D1C80002 02052D2D
	v_and_b32_e32 v3, v45, v5                                  // 000000005648: 26060B2D
	v_cmp_eq_u32_e64 s[60:61], v3, 0                           // 00000000564C: D0CA003C 00010103
	v_cndmask_b32_e64 v4, 1, 0, s[60:61]                       // 000000005654: D1000004 00F10081
	v_and_b32_e32 v4, v4, v2                                   // 00000000565C: 26080504
	v_bfe_u32 v5, v45, 23, 8                                   // 000000005660: D1C80005 02212F2D
	v_add_u32_e32 v5, v5, v4                                   // 000000005668: 680A0905
	v_cmp_u_f32_e64 s[60:61], v45, v45                         // 00000000566C: D048003C 00025B2D
	v_lshlrev_b32_e32 v45, 23, v5                              // 000000005674: 245A0A97
	v_cndmask_b32_e64 v45, v45, v1, s[60:61]                   // 000000005678: D100002D 00F2032D
	v_mov_b32_e32 v5, 0x7fbfffff                               // 000000005680: 7E0A02FF 7FBFFFFF
	v_bfe_u32 v2, v46, 22, 1                                   // 000000005688: D1C80002 02052D2E
	v_and_b32_e32 v3, v46, v5                                  // 000000005690: 26060B2E
	v_cmp_eq_u32_e64 s[60:61], v3, 0                           // 000000005694: D0CA003C 00010103
	v_cndmask_b32_e64 v4, 1, 0, s[60:61]                       // 00000000569C: D1000004 00F10081
	v_and_b32_e32 v4, v4, v2                                   // 0000000056A4: 26080504
	v_bfe_u32 v5, v46, 23, 8                                   // 0000000056A8: D1C80005 02212F2E
	v_add_u32_e32 v5, v5, v4                                   // 0000000056B0: 680A0905
	v_cmp_u_f32_e64 s[60:61], v46, v46                         // 0000000056B4: D048003C 00025D2E
	v_lshlrev_b32_e32 v46, 23, v5                              // 0000000056BC: 245C0A97
	v_cndmask_b32_e64 v46, v46, v1, s[60:61]                   // 0000000056C0: D100002E 00F2032E
	s_mov_b32 s60, 0xffff                                      // 0000000056C8: BEBC00FF 0000FFFF
	v_cvt_scalef32_pk_fp4_f32 v72, v72, v73, v45               // 0000000056D0: D23D0048 04B69348
	v_cvt_scalef32_pk_fp4_f32 v72, v74, v75, v45 op_sel:[0,0,1,0]// 0000000056D8: D23D2048 04B6974A
	v_cvt_scalef32_pk_fp4_f32 v76, v76, v77, v45               // 0000000056E0: D23D004C 04B69B4C
	v_cvt_scalef32_pk_fp4_f32 v76, v78, v79, v45 op_sel:[0,0,1,0]// 0000000056E8: D23D204C 04B69F4E
	s_nop 1                                                    // 0000000056F0: BF800001
	v_permlane16_swap_b32_e32 v72, v76                         // 0000000056F4: 7E90B34C
	s_nop 1                                                    // 0000000056F8: BF800001
	v_and_b32_e64 v72, v72, s60                                // 0000000056FC: D1130048 00007948
	v_lshlrev_b32_e32 v76, 16, v76                             // 000000005704: 24989890
	v_or_b32_e32 v72, v72, v76                                 // 000000005708: 28909948
	v_mov_b32_e32 v76, v72                                     // 00000000570C: 7E980348
	s_nop 1                                                    // 000000005710: BF800001
	v_permlane32_swap_b32_e32 v72, v76                         // 000000005714: 7E90B54C
	s_nop 1                                                    // 000000005718: BF800001
	v_permlane16_swap_b32_e32 v72, v76                         // 00000000571C: 7E90B34C
	s_nop 1                                                    // 000000005720: BF800001
	v_permlane32_swap_b32_e32 v72, v76                         // 000000005724: 7E90B54C
	s_nop 1                                                    // 000000005728: BF800001
	v_cvt_scalef32_pk_fp4_f32 v104, v104, v105, v46            // 00000000572C: D23D0068 04BAD368
	v_cvt_scalef32_pk_fp4_f32 v104, v106, v107, v46 op_sel:[0,0,1,0]// 000000005734: D23D2068 04BAD76A
	v_cvt_scalef32_pk_fp4_f32 v108, v108, v109, v46            // 00000000573C: D23D006C 04BADB6C
	v_cvt_scalef32_pk_fp4_f32 v108, v110, v111, v46 op_sel:[0,0,1,0]// 000000005744: D23D206C 04BADF6E
	s_nop 1                                                    // 00000000574C: BF800001
	v_permlane16_swap_b32_e32 v104, v108                       // 000000005750: 7ED0B36C
	s_nop 1                                                    // 000000005754: BF800001
	v_and_b32_e64 v104, v104, s60                              // 000000005758: D1130068 00007968
	v_lshlrev_b32_e32 v108, 16, v108                           // 000000005760: 24D8D890
	v_or_b32_e32 v104, v104, v108                              // 000000005764: 28D0D968
	v_mov_b32_e32 v108, v104                                   // 000000005768: 7ED80368
	s_nop 1                                                    // 00000000576C: BF800001
	v_permlane32_swap_b32_e32 v104, v108                       // 000000005770: 7ED0B56C
	s_nop 1                                                    // 000000005774: BF800001
	v_permlane16_swap_b32_e32 v104, v108                       // 000000005778: 7ED0B36C
	s_nop 1                                                    // 00000000577C: BF800001
	v_permlane32_swap_b32_e32 v104, v108                       // 000000005780: 7ED0B56C
	s_nop 1                                                    // 000000005784: BF800001
	v_mov_b32_e32 v47, 0x358637bd                              // 000000005788: 7E5E02FF 358637BD
	v_mov_b32_e32 v48, 0x358637bd                              // 000000005790: 7E6002FF 358637BD
	v_max3_f32 v47, |v80|, |v81|, v47                          // 000000005798: D1D3032F 04BEA350
	v_max3_f32 v47, |v82|, |v83|, v47                          // 0000000057A0: D1D3032F 04BEA752
	v_max3_f32 v47, |v84|, |v85|, v47                          // 0000000057A8: D1D3032F 04BEAB54
	v_max3_f32 v47, |v86|, |v87|, v47                          // 0000000057B0: D1D3032F 04BEAF56
	v_max3_f32 v48, |v112|, |v113|, v48                        // 0000000057B8: D1D30330 04C2E370
	v_max3_f32 v48, |v114|, |v115|, v48                        // 0000000057C0: D1D30330 04C2E772
	v_max3_f32 v48, |v116|, |v117|, v48                        // 0000000057C8: D1D30330 04C2EB74
	v_max3_f32 v48, |v118|, |v119|, v48                        // 0000000057D0: D1D30330 04C2EF76
	v_mov_b32_e32 v2, v47                                      // 0000000057D8: 7E04032F
	s_nop 1                                                    // 0000000057DC: BF800001
	v_permlane32_swap_b32_e32 v2, v47                          // 0000000057E0: 7E04B52F
	v_max_f32_e32 v47, v2, v47                                 // 0000000057E4: 165E5F02
	v_mov_b32_e32 v2, v47                                      // 0000000057E8: 7E04032F
	s_nop 1                                                    // 0000000057EC: BF800001
	v_permlane16_swap_b32_e32 v2, v47                          // 0000000057F0: 7E04B32F
	v_max_f32_e32 v47, v2, v47                                 // 0000000057F4: 165E5F02
	v_mov_b32_e32 v2, v48                                      // 0000000057F8: 7E040330
	s_nop 1                                                    // 0000000057FC: BF800001
	v_permlane32_swap_b32_e32 v2, v48                          // 000000005800: 7E04B530
	v_max_f32_e32 v48, v2, v48                                 // 000000005804: 16606102
	v_mov_b32_e32 v2, v48                                      // 000000005808: 7E040330
	s_nop 1                                                    // 00000000580C: BF800001
	v_permlane16_swap_b32_e32 v2, v48                          // 000000005810: 7E04B330
	v_max_f32_e32 v48, v2, v48                                 // 000000005814: 16606102
	v_mov_b32_e32 v2, 0x3e800000                               // 000000005818: 7E0402FF 3E800000
	v_mul_f32_e32 v47, v2, v47                                 // 000000005820: 0A5E5F02
	v_mul_f32_e32 v48, v2, v48                                 // 000000005824: 0A606102
	v_mov_b32_e32 v1, 0x7fff0000                               // 000000005828: 7E0202FF 7FFF0000
	v_mov_b32_e32 v5, 0x7fbfffff                               // 000000005830: 7E0A02FF 7FBFFFFF
	v_bfe_u32 v2, v47, 22, 1                                   // 000000005838: D1C80002 02052D2F
	v_and_b32_e32 v3, v47, v5                                  // 000000005840: 26060B2F
	v_cmp_eq_u32_e64 s[60:61], v3, 0                           // 000000005844: D0CA003C 00010103
	v_cndmask_b32_e64 v4, 1, 0, s[60:61]                       // 00000000584C: D1000004 00F10081
	v_and_b32_e32 v4, v4, v2                                   // 000000005854: 26080504
	v_bfe_u32 v5, v47, 23, 8                                   // 000000005858: D1C80005 02212F2F
	v_add_u32_e32 v5, v5, v4                                   // 000000005860: 680A0905
	v_cmp_u_f32_e64 s[60:61], v47, v47                         // 000000005864: D048003C 00025F2F
	v_lshlrev_b32_e32 v47, 23, v5                              // 00000000586C: 245E0A97
	v_cndmask_b32_e64 v47, v47, v1, s[60:61]                   // 000000005870: D100002F 00F2032F
	v_mov_b32_e32 v5, 0x7fbfffff                               // 000000005878: 7E0A02FF 7FBFFFFF
	v_bfe_u32 v2, v48, 22, 1                                   // 000000005880: D1C80002 02052D30
	v_and_b32_e32 v3, v48, v5                                  // 000000005888: 26060B30
	v_cmp_eq_u32_e64 s[60:61], v3, 0                           // 00000000588C: D0CA003C 00010103
	v_cndmask_b32_e64 v4, 1, 0, s[60:61]                       // 000000005894: D1000004 00F10081
	v_and_b32_e32 v4, v4, v2                                   // 00000000589C: 26080504
	v_bfe_u32 v5, v48, 23, 8                                   // 0000000058A0: D1C80005 02212F30
	v_add_u32_e32 v5, v5, v4                                   // 0000000058A8: 680A0905
	v_cmp_u_f32_e64 s[60:61], v48, v48                         // 0000000058AC: D048003C 00026130
	v_lshlrev_b32_e32 v48, 23, v5                              // 0000000058B4: 24600A97
	v_cndmask_b32_e64 v48, v48, v1, s[60:61]                   // 0000000058B8: D1000030 00F20330
	s_mov_b32 s60, 0xffff                                      // 0000000058C0: BEBC00FF 0000FFFF
	v_cvt_scalef32_pk_fp4_f32 v80, v80, v81, v47               // 0000000058C8: D23D0050 04BEA350
	v_cvt_scalef32_pk_fp4_f32 v80, v82, v83, v47 op_sel:[0,0,1,0]// 0000000058D0: D23D2050 04BEA752
	v_cvt_scalef32_pk_fp4_f32 v84, v84, v85, v47               // 0000000058D8: D23D0054 04BEAB54
	v_cvt_scalef32_pk_fp4_f32 v84, v86, v87, v47 op_sel:[0,0,1,0]// 0000000058E0: D23D2054 04BEAF56
	s_nop 1                                                    // 0000000058E8: BF800001
	v_permlane16_swap_b32_e32 v80, v84                         // 0000000058EC: 7EA0B354
	s_nop 1                                                    // 0000000058F0: BF800001
	v_and_b32_e64 v80, v80, s60                                // 0000000058F4: D1130050 00007950
	v_lshlrev_b32_e32 v84, 16, v84                             // 0000000058FC: 24A8A890
	v_or_b32_e32 v80, v80, v84                                 // 000000005900: 28A0A950
	v_mov_b32_e32 v84, v80                                     // 000000005904: 7EA80350
	s_nop 1                                                    // 000000005908: BF800001
	v_permlane32_swap_b32_e32 v80, v84                         // 00000000590C: 7EA0B554
	s_nop 1                                                    // 000000005910: BF800001
	v_permlane16_swap_b32_e32 v80, v84                         // 000000005914: 7EA0B354
	s_nop 1                                                    // 000000005918: BF800001
	v_permlane32_swap_b32_e32 v80, v84                         // 00000000591C: 7EA0B554
	s_nop 1                                                    // 000000005920: BF800001
	v_cvt_scalef32_pk_fp4_f32 v112, v112, v113, v48            // 000000005924: D23D0070 04C2E370
	v_cvt_scalef32_pk_fp4_f32 v112, v114, v115, v48 op_sel:[0,0,1,0]// 00000000592C: D23D2070 04C2E772
	v_cvt_scalef32_pk_fp4_f32 v116, v116, v117, v48            // 000000005934: D23D0074 04C2EB74
	v_cvt_scalef32_pk_fp4_f32 v116, v118, v119, v48 op_sel:[0,0,1,0]// 00000000593C: D23D2074 04C2EF76
	s_nop 1                                                    // 000000005944: BF800001
	v_permlane16_swap_b32_e32 v112, v116                       // 000000005948: 7EE0B374
	s_nop 1                                                    // 00000000594C: BF800001
	v_and_b32_e64 v112, v112, s60                              // 000000005950: D1130070 00007970
	v_lshlrev_b32_e32 v116, 16, v116                           // 000000005958: 24E8E890
	v_or_b32_e32 v112, v112, v116                              // 00000000595C: 28E0E970
	v_mov_b32_e32 v116, v112                                   // 000000005960: 7EE80370
	s_nop 1                                                    // 000000005964: BF800001
	v_permlane32_swap_b32_e32 v112, v116                       // 000000005968: 7EE0B574
	s_nop 1                                                    // 00000000596C: BF800001
	v_permlane16_swap_b32_e32 v112, v116                       // 000000005970: 7EE0B374
	s_nop 1                                                    // 000000005974: BF800001
	v_permlane32_swap_b32_e32 v112, v116                       // 000000005978: 7EE0B574
	s_nop 1                                                    // 00000000597C: BF800001
	v_mov_b32_e32 v49, 0x358637bd                              // 000000005980: 7E6202FF 358637BD
	v_mov_b32_e32 v50, 0x358637bd                              // 000000005988: 7E6402FF 358637BD
	v_max3_f32 v49, |v88|, |v89|, v49                          // 000000005990: D1D30331 04C6B358
	v_max3_f32 v49, |v90|, |v91|, v49                          // 000000005998: D1D30331 04C6B75A
	v_max3_f32 v49, |v92|, |v93|, v49                          // 0000000059A0: D1D30331 04C6BB5C
	v_max3_f32 v49, |v94|, |v95|, v49                          // 0000000059A8: D1D30331 04C6BF5E
	v_max3_f32 v50, |v120|, |v121|, v50                        // 0000000059B0: D1D30332 04CAF378
	v_max3_f32 v50, |v122|, |v123|, v50                        // 0000000059B8: D1D30332 04CAF77A
	v_max3_f32 v50, |v124|, |v125|, v50                        // 0000000059C0: D1D30332 04CAFB7C
	v_max3_f32 v50, |v126|, |v127|, v50                        // 0000000059C8: D1D30332 04CAFF7E
	v_mov_b32_e32 v2, v49                                      // 0000000059D0: 7E040331
	s_nop 1                                                    // 0000000059D4: BF800001
	v_permlane32_swap_b32_e32 v2, v49                          // 0000000059D8: 7E04B531
	v_max_f32_e32 v49, v2, v49                                 // 0000000059DC: 16626302
	v_mov_b32_e32 v2, v49                                      // 0000000059E0: 7E040331
	s_nop 1                                                    // 0000000059E4: BF800001
	v_permlane16_swap_b32_e32 v2, v49                          // 0000000059E8: 7E04B331
	v_max_f32_e32 v49, v2, v49                                 // 0000000059EC: 16626302
	v_mov_b32_e32 v2, v50                                      // 0000000059F0: 7E040332
	s_nop 1                                                    // 0000000059F4: BF800001
	v_permlane32_swap_b32_e32 v2, v50                          // 0000000059F8: 7E04B532
	v_max_f32_e32 v50, v2, v50                                 // 0000000059FC: 16646502
	v_mov_b32_e32 v2, v50                                      // 000000005A00: 7E040332
	s_nop 1                                                    // 000000005A04: BF800001
	v_permlane16_swap_b32_e32 v2, v50                          // 000000005A08: 7E04B332
	v_max_f32_e32 v50, v2, v50                                 // 000000005A0C: 16646502
	v_mov_b32_e32 v2, 0x3e800000                               // 000000005A10: 7E0402FF 3E800000
	v_mul_f32_e32 v49, v2, v49                                 // 000000005A18: 0A626302
	v_mul_f32_e32 v50, v2, v50                                 // 000000005A1C: 0A646502
	v_mov_b32_e32 v1, 0x7fff0000                               // 000000005A20: 7E0202FF 7FFF0000
	v_mov_b32_e32 v5, 0x7fbfffff                               // 000000005A28: 7E0A02FF 7FBFFFFF
	v_bfe_u32 v2, v49, 22, 1                                   // 000000005A30: D1C80002 02052D31
	v_and_b32_e32 v3, v49, v5                                  // 000000005A38: 26060B31
	v_cmp_eq_u32_e64 s[60:61], v3, 0                           // 000000005A3C: D0CA003C 00010103
	v_cndmask_b32_e64 v4, 1, 0, s[60:61]                       // 000000005A44: D1000004 00F10081
	v_and_b32_e32 v4, v4, v2                                   // 000000005A4C: 26080504
	v_bfe_u32 v5, v49, 23, 8                                   // 000000005A50: D1C80005 02212F31
	v_add_u32_e32 v5, v5, v4                                   // 000000005A58: 680A0905
	v_cmp_u_f32_e64 s[60:61], v49, v49                         // 000000005A5C: D048003C 00026331
	v_lshlrev_b32_e32 v49, 23, v5                              // 000000005A64: 24620A97
	v_cndmask_b32_e64 v49, v49, v1, s[60:61]                   // 000000005A68: D1000031 00F20331
	v_mov_b32_e32 v5, 0x7fbfffff                               // 000000005A70: 7E0A02FF 7FBFFFFF
	v_bfe_u32 v2, v50, 22, 1                                   // 000000005A78: D1C80002 02052D32
	v_and_b32_e32 v3, v50, v5                                  // 000000005A80: 26060B32
	v_cmp_eq_u32_e64 s[60:61], v3, 0                           // 000000005A84: D0CA003C 00010103
	v_cndmask_b32_e64 v4, 1, 0, s[60:61]                       // 000000005A8C: D1000004 00F10081
	v_and_b32_e32 v4, v4, v2                                   // 000000005A94: 26080504
	v_bfe_u32 v5, v50, 23, 8                                   // 000000005A98: D1C80005 02212F32
	v_add_u32_e32 v5, v5, v4                                   // 000000005AA0: 680A0905
	v_cmp_u_f32_e64 s[60:61], v50, v50                         // 000000005AA4: D048003C 00026532
	v_lshlrev_b32_e32 v50, 23, v5                              // 000000005AAC: 24640A97
	v_cndmask_b32_e64 v50, v50, v1, s[60:61]                   // 000000005AB0: D1000032 00F20332
	s_mov_b32 s60, 0xffff                                      // 000000005AB8: BEBC00FF 0000FFFF
	v_cvt_scalef32_pk_fp4_f32 v88, v88, v89, v49               // 000000005AC0: D23D0058 04C6B358
	v_cvt_scalef32_pk_fp4_f32 v88, v90, v91, v49 op_sel:[0,0,1,0]// 000000005AC8: D23D2058 04C6B75A
	v_cvt_scalef32_pk_fp4_f32 v92, v92, v93, v49               // 000000005AD0: D23D005C 04C6BB5C
	v_cvt_scalef32_pk_fp4_f32 v92, v94, v95, v49 op_sel:[0,0,1,0]// 000000005AD8: D23D205C 04C6BF5E
	s_nop 1                                                    // 000000005AE0: BF800001
	v_permlane16_swap_b32_e32 v88, v92                         // 000000005AE4: 7EB0B35C
	s_nop 1                                                    // 000000005AE8: BF800001
	v_and_b32_e64 v88, v88, s60                                // 000000005AEC: D1130058 00007958
	v_lshlrev_b32_e32 v92, 16, v92                             // 000000005AF4: 24B8B890
	v_or_b32_e32 v88, v88, v92                                 // 000000005AF8: 28B0B958
	v_mov_b32_e32 v92, v88                                     // 000000005AFC: 7EB80358
	s_nop 1                                                    // 000000005B00: BF800001
	v_permlane32_swap_b32_e32 v88, v92                         // 000000005B04: 7EB0B55C
	s_nop 1                                                    // 000000005B08: BF800001
	v_permlane16_swap_b32_e32 v88, v92                         // 000000005B0C: 7EB0B35C
	s_nop 1                                                    // 000000005B10: BF800001
	v_permlane32_swap_b32_e32 v88, v92                         // 000000005B14: 7EB0B55C
	s_nop 1                                                    // 000000005B18: BF800001
	v_cvt_scalef32_pk_fp4_f32 v120, v120, v121, v50            // 000000005B1C: D23D0078 04CAF378
	v_cvt_scalef32_pk_fp4_f32 v120, v122, v123, v50 op_sel:[0,0,1,0]// 000000005B24: D23D2078 04CAF77A
	v_cvt_scalef32_pk_fp4_f32 v124, v124, v125, v50            // 000000005B2C: D23D007C 04CAFB7C
	v_cvt_scalef32_pk_fp4_f32 v124, v126, v127, v50 op_sel:[0,0,1,0]// 000000005B34: D23D207C 04CAFF7E
	s_nop 1                                                    // 000000005B3C: BF800001
	v_permlane16_swap_b32_e32 v120, v124                       // 000000005B40: 7EF0B37C
	s_nop 1                                                    // 000000005B44: BF800001
	v_and_b32_e64 v120, v120, s60                              // 000000005B48: D1130078 00007978
	v_lshlrev_b32_e32 v124, 16, v124                           // 000000005B50: 24F8F890
	v_or_b32_e32 v120, v120, v124                              // 000000005B54: 28F0F978
	v_mov_b32_e32 v124, v120                                   // 000000005B58: 7EF80378
	s_nop 1                                                    // 000000005B5C: BF800001
	v_permlane32_swap_b32_e32 v120, v124                       // 000000005B60: 7EF0B57C
	s_nop 1                                                    // 000000005B64: BF800001
	v_permlane16_swap_b32_e32 v120, v124                       // 000000005B68: 7EF0B37C
	s_nop 1                                                    // 000000005B6C: BF800001
	v_permlane32_swap_b32_e32 v120, v124                       // 000000005B70: 7EF0B57C
	s_nop 1                                                    // 000000005B74: BF800001
	v_lshrrev_b32_e32 v2, 5, v0                                // 000000005B78: 20040085
	v_lshlrev_b32_e32 v3, 6, v2                                // 000000005B7C: 24060486
	v_and_b32_e32 v2, 31, v0                                   // 000000005B80: 2604009F
	v_lshrrev_b32_e32 v4, 4, v2                                // 000000005B84: 20080484
	v_add_u32_e32 v3, v4, v3                                   // 000000005B88: 68060704
	v_and_b32_e32 v2, 15, v0                                   // 000000005B8C: 2604008F
	v_lshlrev_b32_e32 v2, 1, v2                                // 000000005B90: 24040481
	v_add_u32_e32 v3, v2, v3                                   // 000000005B94: 68060702
	v_lshlrev_b32_e32 v2, 2, v3                                // 000000005B98: 24040682
	s_mov_b32 s60, 0                                           // 000000005B9C: BEBC0080
	s_lshr_b32 s61, s7, 1                                      // 000000005BA0: 8F3D8107
	s_mul_i32 s61, s61, 0x200                                  // 000000005BA4: 923DFF3D 00000200
	s_add_u32 s60, s61, s60                                    // 000000005BAC: 803C3C3D
	s_and_b32 s61, s7, 1                                       // 000000005BB0: 863D8107
	s_mul_i32 s61, s61, 0x80                                   // 000000005BB4: 923DFF3D 00000080
	s_add_u32 s60, s61, s60                                    // 000000005BBC: 803C3C3D
	v_add_u32_e64 v2, v2, s60                                  // 000000005BC0: D1340002 00007902
	ds_write_b32 v2, v64                                       // 000000005BC8: D81A0000 00004002
	ds_write_b32 v2, v72 offset:1024                           // 000000005BD0: D81A0400 00004802
	ds_write_b32 v2, v80 offset:2048                           // 000000005BD8: D81A0800 00005002
	ds_write_b32 v2, v88 offset:3072                           // 000000005BE0: D81A0C00 00005802
	ds_write_b32 v2, v96 offset:4096                           // 000000005BE8: D81A1000 00006002
	ds_write_b32 v2, v104 offset:5120                          // 000000005BF0: D81A1400 00006802
	ds_write_b32 v2, v112 offset:6144                          // 000000005BF8: D81A1800 00007002
	ds_write_b32 v2, v120 offset:7168                          // 000000005C00: D81A1C00 00007802
	s_waitcnt lgkmcnt(0)                                       // 000000005C08: BF8CC07F
	s_barrier                                                  // 000000005C0C: BF8A0000
	v_and_b32_e32 v2, 31, v0                                   // 000000005C10: 2604009F
	v_lshrrev_b32_e32 v2, 4, v2                                // 000000005C14: 20040484
	v_lshlrev_b32_e32 v3, 5, v2                                // 000000005C18: 24060485
	v_lshrrev_b32_e32 v2, 5, v0                                // 000000005C1C: 20040085
	v_lshlrev_b32_e32 v2, 7, v2                                // 000000005C20: 24040487
	v_add_u32_e32 v3, v2, v3                                   // 000000005C24: 68060702
	v_and_b32_e32 v2, 15, v0                                   // 000000005C28: 2604008F
	v_lshlrev_b32_e32 v2, 1, v2                                // 000000005C2C: 24040481
	v_add_u32_e32 v3, v2, v3                                   // 000000005C30: 68060702
	v_lshlrev_b32_e32 v2, 2, v3                                // 000000005C34: 24040682
	ds_read_b64 v[64:65], v2                                   // 000000005C38: D8EC0000 40000002
	ds_read_b64 v[66:67], v2 offset:256                        // 000000005C40: D8EC0100 42000002
	ds_read_b64 v[68:69], v2 offset:1024                       // 000000005C48: D8EC0400 44000002
	ds_read_b64 v[70:71], v2 offset:1280                       // 000000005C50: D8EC0500 46000002
	ds_read_b64 v[72:73], v2 offset:2048                       // 000000005C58: D8EC0800 48000002
	ds_read_b64 v[74:75], v2 offset:2304                       // 000000005C60: D8EC0900 4A000002
	ds_read_b64 v[76:77], v2 offset:3072                       // 000000005C68: D8EC0C00 4C000002
	ds_read_b64 v[78:79], v2 offset:3328                       // 000000005C70: D8EC0D00 4E000002
	ds_read_b64 v[80:81], v2 offset:4096                       // 000000005C78: D8EC1000 50000002
	ds_read_b64 v[82:83], v2 offset:4352                       // 000000005C80: D8EC1100 52000002
	ds_read_b64 v[84:85], v2 offset:5120                       // 000000005C88: D8EC1400 54000002
	ds_read_b64 v[86:87], v2 offset:5376                       // 000000005C90: D8EC1500 56000002
	ds_read_b64 v[88:89], v2 offset:6144                       // 000000005C98: D8EC1800 58000002
	ds_read_b64 v[90:91], v2 offset:6400                       // 000000005CA0: D8EC1900 5A000002
	ds_read_b64 v[92:93], v2 offset:7168                       // 000000005CA8: D8EC1C00 5C000002
	ds_read_b64 v[94:95], v2 offset:7424                       // 000000005CB0: D8EC1D00 5E000002
	s_waitcnt lgkmcnt(0)                                       // 000000005CB8: BF8CC07F
	s_barrier                                                  // 000000005CBC: BF8A0000
	v_lshrrev_b32_e32 v2, 5, v0                                // 000000005CC0: 20040085
	v_lshlrev_b32_e32 v3, 6, v2                                // 000000005CC4: 24060486
	v_and_b32_e32 v2, 31, v0                                   // 000000005CC8: 2604009F
	v_lshrrev_b32_e32 v4, 4, v2                                // 000000005CCC: 20080484
	v_add_u32_e32 v3, v4, v3                                   // 000000005CD0: 68060704
	v_and_b32_e32 v2, 15, v0                                   // 000000005CD4: 2604008F
	v_lshlrev_b32_e32 v2, 1, v2                                // 000000005CD8: 24040481
	v_add_u32_e32 v3, v2, v3                                   // 000000005CDC: 68060702
	v_lshlrev_b32_e32 v2, 2, v3                                // 000000005CE0: 24040682
	s_mov_b32 s60, 0                                           // 000000005CE4: BEBC0080
	s_lshr_b32 s61, s7, 1                                      // 000000005CE8: 8F3D8107
	s_mul_i32 s61, s61, 0x200                                  // 000000005CEC: 923DFF3D 00000200
	s_add_u32 s60, s61, s60                                    // 000000005CF4: 803C3C3D
	s_and_b32 s61, s7, 1                                       // 000000005CF8: 863D8107
	s_mul_i32 s61, s61, 0x80                                   // 000000005CFC: 923DFF3D 00000080
	s_add_u32 s60, s61, s60                                    // 000000005D04: 803C3C3D
	v_add_u32_e64 v2, v2, s60                                  // 000000005D08: D1340002 00007902
	ds_write_b32 v2, v43                                       // 000000005D10: D81A0000 00002B02
	ds_write_b32 v2, v45 offset:1024                           // 000000005D18: D81A0400 00002D02
	ds_write_b32 v2, v47 offset:2048                           // 000000005D20: D81A0800 00002F02
	ds_write_b32 v2, v49 offset:3072                           // 000000005D28: D81A0C00 00003102
	ds_write_b32 v2, v44 offset:4096                           // 000000005D30: D81A1000 00002C02
	ds_write_b32 v2, v46 offset:5120                           // 000000005D38: D81A1400 00002E02
	ds_write_b32 v2, v48 offset:6144                           // 000000005D40: D81A1800 00003002
	ds_write_b32 v2, v50 offset:7168                           // 000000005D48: D81A1C00 00003202
	s_waitcnt lgkmcnt(0)                                       // 000000005D50: BF8CC07F
	s_barrier                                                  // 000000005D54: BF8A0000
	v_and_b32_e32 v2, 31, v0                                   // 000000005D58: 2604009F
	v_lshrrev_b32_e32 v2, 4, v2                                // 000000005D5C: 20040484
	v_lshlrev_b32_e32 v3, 5, v2                                // 000000005D60: 24060485
	v_lshrrev_b32_e32 v2, 5, v0                                // 000000005D64: 20040085
	v_lshlrev_b32_e32 v2, 7, v2                                // 000000005D68: 24040487
	v_add_u32_e32 v3, v2, v3                                   // 000000005D6C: 68060702
	v_and_b32_e32 v2, 15, v0                                   // 000000005D70: 2604008F
	v_lshlrev_b32_e32 v2, 1, v2                                // 000000005D74: 24040481
	v_add_u32_e32 v3, v2, v3                                   // 000000005D78: 68060702
	v_lshlrev_b32_e32 v2, 2, v3                                // 000000005D7C: 24040682
	ds_read_b32 v43, v2                                        // 000000005D80: D86C0000 2B000002
	ds_read_b32 v45, v2 offset:1024                            // 000000005D88: D86C0400 2D000002
	ds_read_b32 v47, v2 offset:2048                            // 000000005D90: D86C0800 2F000002
	ds_read_b32 v49, v2 offset:3072                            // 000000005D98: D86C0C00 31000002
	ds_read_b32 v44, v2 offset:4096                            // 000000005DA0: D86C1000 2C000002
	ds_read_b32 v46, v2 offset:5120                            // 000000005DA8: D86C1400 2E000002
	ds_read_b32 v48, v2 offset:6144                            // 000000005DB0: D86C1800 30000002
	ds_read_b32 v50, v2 offset:7168                            // 000000005DB8: D86C1C00 32000002
	s_waitcnt lgkmcnt(0)                                       // 000000005DC0: BF8CC07F
	s_barrier                                                  // 000000005DC4: BF8A0000
	v_bfe_u32 v43, v43, 23, 8                                  // 000000005DC8: D1C8002B 02212F2B
	v_bfe_u32 v44, v44, 23, 8                                  // 000000005DD0: D1C8002C 02212F2C
	v_bfe_u32 v45, v45, 23, 8                                  // 000000005DD8: D1C8002D 02212F2D
	v_bfe_u32 v46, v46, 23, 8                                  // 000000005DE0: D1C8002E 02212F2E
	v_bfe_u32 v47, v47, 23, 8                                  // 000000005DE8: D1C8002F 02212F2F
	v_bfe_u32 v48, v48, 23, 8                                  // 000000005DF0: D1C80030 02212F30
	v_bfe_u32 v49, v49, 23, 8                                  // 000000005DF8: D1C80031 02212F31
	v_bfe_u32 v50, v50, 23, 8                                  // 000000005E00: D1C80032 02212F32
	v_mov_b32_e32 v2, 0                                        // 000000005E08: 7E040280
	v_lshlrev_b32_e32 v43, 0, v43                              // 000000005E0C: 24565680
	v_or_b32_e32 v2, v2, v43                                   // 000000005E10: 28045702
	v_lshlrev_b32_e32 v44, 8, v44                              // 000000005E14: 24585888
	v_or_b32_e32 v2, v2, v44                                   // 000000005E18: 28045902
	v_lshlrev_b32_e32 v45, 16, v45                             // 000000005E1C: 245A5A90
	v_or_b32_e32 v2, v2, v45                                   // 000000005E20: 28045B02
	v_lshlrev_b32_e32 v46, 24, v46                             // 000000005E24: 245C5C98
	v_or_b32_e32 v2, v2, v46                                   // 000000005E28: 28045D02
	v_mov_b32_e32 v43, v2                                      // 000000005E2C: 7E560302
	v_mov_b32_e32 v2, 0                                        // 000000005E30: 7E040280
	v_lshlrev_b32_e32 v47, 0, v47                              // 000000005E34: 245E5E80
	v_or_b32_e32 v2, v2, v47                                   // 000000005E38: 28045F02
	v_lshlrev_b32_e32 v48, 8, v48                              // 000000005E3C: 24606088
	v_or_b32_e32 v2, v2, v48                                   // 000000005E40: 28046102
	v_lshlrev_b32_e32 v49, 16, v49                             // 000000005E44: 24626290
	v_or_b32_e32 v2, v2, v49                                   // 000000005E48: 28046302
	v_lshlrev_b32_e32 v50, 24, v50                             // 000000005E4C: 24646498
	v_or_b32_e32 v2, v2, v50                                   // 000000005E50: 28046502
	v_mov_b32_e32 v44, v2                                      // 000000005E54: 7E580302
	s_add_u32 s12, s56, s12                                    // 000000005E58: 800C0C38
	s_addc_u32 s13, 0, s13                                     // 000000005E5C: 820D0D80
	s_add_u32 s16, s79, s16                                    // 000000005E60: 8010104F
	s_addc_u32 s17, 0, s17                                     // 000000005E64: 82111180
	s_waitcnt lgkmcnt(0)                                       // 000000005E68: BF8CC07F
	s_barrier                                                  // 000000005E6C: BF8A0000
	v_mov_b32_e32 v160, 0                                      // 000000005E70: 7F400280
	v_mov_b32_e32 v192, 0                                      // 000000005E74: 7F800280
	v_mov_b32_e32 v161, 0                                      // 000000005E78: 7F420280
	v_mov_b32_e32 v193, 0                                      // 000000005E7C: 7F820280
	v_mov_b32_e32 v162, 0                                      // 000000005E80: 7F440280
	v_mov_b32_e32 v194, 0                                      // 000000005E84: 7F840280
	v_mov_b32_e32 v163, 0                                      // 000000005E88: 7F460280
	v_mov_b32_e32 v195, 0                                      // 000000005E8C: 7F860280
	v_mov_b32_e32 v164, 0                                      // 000000005E90: 7F480280
	v_mov_b32_e32 v196, 0                                      // 000000005E94: 7F880280
	v_mov_b32_e32 v165, 0                                      // 000000005E98: 7F4A0280
	v_mov_b32_e32 v197, 0                                      // 000000005E9C: 7F8A0280
	v_mov_b32_e32 v166, 0                                      // 000000005EA0: 7F4C0280
	v_mov_b32_e32 v198, 0                                      // 000000005EA4: 7F8C0280
	v_mov_b32_e32 v167, 0                                      // 000000005EA8: 7F4E0280
	v_mov_b32_e32 v199, 0                                      // 000000005EAC: 7F8E0280
	v_mov_b32_e32 v168, 0                                      // 000000005EB0: 7F500280
	v_mov_b32_e32 v200, 0                                      // 000000005EB4: 7F900280
	v_mov_b32_e32 v169, 0                                      // 000000005EB8: 7F520280
	v_mov_b32_e32 v201, 0                                      // 000000005EBC: 7F920280
	v_mov_b32_e32 v170, 0                                      // 000000005EC0: 7F540280
	v_mov_b32_e32 v202, 0                                      // 000000005EC4: 7F940280
	v_mov_b32_e32 v171, 0                                      // 000000005EC8: 7F560280
	v_mov_b32_e32 v203, 0                                      // 000000005ECC: 7F960280
	v_mov_b32_e32 v172, 0                                      // 000000005ED0: 7F580280
	v_mov_b32_e32 v204, 0                                      // 000000005ED4: 7F980280
	v_mov_b32_e32 v173, 0                                      // 000000005ED8: 7F5A0280
	v_mov_b32_e32 v205, 0                                      // 000000005EDC: 7F9A0280
	v_mov_b32_e32 v174, 0                                      // 000000005EE0: 7F5C0280
	v_mov_b32_e32 v206, 0                                      // 000000005EE4: 7F9C0280
	v_mov_b32_e32 v175, 0                                      // 000000005EE8: 7F5E0280
	v_mov_b32_e32 v207, 0                                      // 000000005EEC: 7F9E0280
	ds_write_b64 v8, v[160:161]                                // 000000005EF0: D89A0000 0000A008
	ds_write_b64 v8, v[162:163] offset:8704                    // 000000005EF8: D89A2200 0000A208
	ds_write_b64 v8, v[164:165] offset:544                     // 000000005F00: D89A0220 0000A408
	ds_write_b64 v8, v[166:167] offset:9248                    // 000000005F08: D89A2420 0000A608
	ds_write_b64 v8, v[168:169] offset:4352                    // 000000005F10: D89A1100 0000A808
	ds_write_b64 v8, v[170:171] offset:13056                   // 000000005F18: D89A3300 0000AA08
	ds_write_b64 v8, v[172:173] offset:4896                    // 000000005F20: D89A1320 0000AC08
	ds_write_b64 v8, v[174:175] offset:13600                   // 000000005F28: D89A3520 0000AE08
	s_mov_b32 s80, 0                                           // 000000005F30: BED00080
	s_waitcnt vmcnt(0) expcnt(0) lgkmcnt(0)                    // 000000005F34: BF8C0000

0000000000005f38 <label_0C4E>:
	s_waitcnt vmcnt(30) lgkmcnt(0)                             // 000000005F38: BF8C407E
	s_barrier                                                  // 000000005F3C: BF8A0000
	v_mfma_scale_f32_16x16x128_f8f6f4 v[160:163], a[0:3], v[64:67], 0, v25, v43 op_sel_hi:[0,0,0] cbsz:4 blgp:4// 000000005F40: D3AC6000 00025719 D3AD0CA0 8A028100
	ds_read_b32 v128, v9                                       // 000000005F50: D86C0000 80000009
	ds_read_b32 v129, v9 offset:4352                           // 000000005F58: D86C1100 81000009
	ds_read_b32 v130, v9 offset:8                              // 000000005F60: D86C0008 82000009
	ds_read_b32 v131, v9 offset:4360                           // 000000005F68: D86C1108 83000009
	v_mfma_scale_f32_16x16x128_f8f6f4 v[164:167], a[0:3], v[80:83], 0, v25, v43 op_sel_hi:[0,0,0] cbsz:4 blgp:4// 000000005F70: D3AC7000 00025719 D3AD0CA4 8A02A100
	buffer_load_dwordx4 a[64:67], v60, s[12:15], 0 offen       // 000000005F80: E05C1000 8083403C
	v_mfma_scale_f32_16x16x128_f8f6f4 v[168:171], a[4:7], v[64:67], 0, v25, v43 op_sel_hi:[0,0,0] cbsz:4 blgp:4// 000000005F88: D3AC6800 00025719 D3AD0CA8 8A028104
	ds_read_b32 v132, v9 offset:32                             // 000000005F98: D86C0020 84000009
	ds_read_b32 v133, v9 offset:4384                           // 000000005FA0: D86C1120 85000009
	ds_read_b32 v134, v9 offset:40                             // 000000005FA8: D86C0028 86000009
	ds_read_b32 v135, v9 offset:4392                           // 000000005FB0: D86C1128 87000009
	v_mfma_scale_f32_16x16x128_f8f6f4 v[172:175], a[4:7], v[80:83], 0, v25, v43 op_sel_hi:[0,0,0] cbsz:4 blgp:4// 000000005FB8: D3AC7800 00025719 D3AD0CAC 8A02A104
	buffer_load_dwordx4 a[68:71], v61, s[12:15], 0 offen       // 000000005FC8: E05C1000 8083443D
	buffer_load_dword v29, v10, s[16:19], 0 offen              // 000000005FD0: E0501000 80041D0A
	buffer_load_dword v30, v11, s[16:19], 0 offen              // 000000005FD8: E0501000 80041E0B
	buffer_load_dword v31, v10, s[16:19], 0 offen offset:256   // 000000005FE0: E0501100 80041F0A
	buffer_load_dword v32, v11, s[16:19], 0 offen offset:256   // 000000005FE8: E0501100 8004200B
	s_waitcnt vmcnt(34)                                        // 000000005FF0: BF8C8F72
	v_mfma_scale_f32_16x16x128_f8f6f4 v[176:179], a[8:11], v[64:67], 0, v26, v43 op_sel_hi:[0,0,0] cbsz:4 blgp:4// 000000005FF4: D3AC6000 0002571A D3AD0CB0 8A028108
	ds_read_b32 v136, v9 offset:8704                           // 000000006004: D86C2200 88000009
	ds_read_b32 v137, v9 offset:13056                          // 00000000600C: D86C3300 89000009
	ds_read_b32 v138, v9 offset:8712                           // 000000006014: D86C2208 8A000009
	ds_read_b32 v139, v9 offset:13064                          // 00000000601C: D86C3308 8B000009
	v_mfma_scale_f32_16x16x128_f8f6f4 v[180:183], a[8:11], v[80:83], 0, v26, v43 op_sel_hi:[0,0,0] cbsz:4 blgp:4// 000000006024: D3AC7000 0002571A D3AD0CB4 8A02A108
	buffer_load_dwordx4 a[72:75], v62, s[12:15], 0 offen       // 000000006034: E05C1000 8083483E
	v_mfma_scale_f32_16x16x128_f8f6f4 v[184:187], a[12:15], v[64:67], 0, v26, v43 op_sel_hi:[0,0,0] cbsz:4 blgp:4// 00000000603C: D3AC6800 0002571A D3AD0CB8 8A02810C
	ds_read_b32 v140, v9 offset:8736                           // 00000000604C: D86C2220 8C000009
	ds_read_b32 v141, v9 offset:13088                          // 000000006054: D86C3320 8D000009
	ds_read_b32 v142, v9 offset:8744                           // 00000000605C: D86C2228 8E000009
	ds_read_b32 v143, v9 offset:13096                          // 000000006064: D86C3328 8F000009
	v_mfma_scale_f32_16x16x128_f8f6f4 v[188:191], a[12:15], v[80:83], 0, v26, v43 op_sel_hi:[0,0,0] cbsz:4 blgp:4// 00000000606C: D3AC7800 0002571A D3AD0CBC 8A02A10C
	buffer_load_dwordx4 a[76:79], v63, s[12:15], 0 offen       // 00000000607C: E05C1000 80834C3F
	buffer_load_dword v31, v10, s[16:19], 0 offen offset:256   // 000000006084: E0501100 80041F0A
	buffer_load_dword v32, v11, s[16:19], 0 offen offset:256   // 00000000608C: E0501100 8004200B
	s_waitcnt vmcnt(34)                                        // 000000006094: BF8C8F72
	v_mfma_scale_f32_16x16x128_f8f6f4 v[160:163], a[16:19], v[68:71], v[160:163], v25, v43 op_sel_hi:[0,0,0] cbsz:4 blgp:4// 000000006098: D3AC6000 18025719 D3AD0CA0 8E828910
	ds_write_b64 v8, v[192:193] offset:17408                   // 0000000060A8: D89A4400 0000C008
	ds_write_b64 v8, v[194:195] offset:26112                   // 0000000060B0: D89A6600 0000C208
	v_mfma_scale_f32_16x16x128_f8f6f4 v[164:167], a[16:19], v[84:87], v[164:167], v25, v43 op_sel_hi:[0,0,0] cbsz:4 blgp:4// 0000000060B8: D3AC7000 18025719 D3AD0CA4 8E92A910
	buffer_load_dwordx4 a[80:83], v60, s[12:15], 0 offen offset:1024// 0000000060C8: E05C1400 8083503C
	v_mfma_scale_f32_16x16x128_f8f6f4 v[168:171], a[20:23], v[68:71], v[168:171], v25, v43 op_sel_hi:[0,0,0] cbsz:4 blgp:4// 0000000060D0: D3AC6800 18025719 D3AD0CA8 8EA28914
	ds_write_b64 v8, v[196:197] offset:17952                   // 0000000060E0: D89A4620 0000C408
	ds_write_b64 v8, v[198:199] offset:26656                   // 0000000060E8: D89A6820 0000C608
	v_mfma_scale_f32_16x16x128_f8f6f4 v[172:175], a[20:23], v[84:87], v[172:175], v25, v43 op_sel_hi:[0,0,0] cbsz:4 blgp:4// 0000000060F0: D3AC7800 18025719 D3AD0CAC 8EB2A914
	buffer_load_dwordx4 a[84:87], v61, s[12:15], 0 offen offset:1024// 000000006100: E05C1400 8083543D
	s_waitcnt vmcnt(34)                                        // 000000006108: BF8C8F72
	v_mfma_scale_f32_16x16x128_f8f6f4 v[176:179], a[24:27], v[68:71], v[176:179], v26, v43 op_sel_hi:[0,0,0] cbsz:4 blgp:4// 00000000610C: D3AC6000 1802571A D3AD0CB0 8EC28918
	ds_write_b64 v8, v[200:201] offset:21760                   // 00000000611C: D89A5500 0000C808
	ds_write_b64 v8, v[202:203] offset:30464                   // 000000006124: D89A7700 0000CA08
	v_mfma_scale_f32_16x16x128_f8f6f4 v[180:183], a[24:27], v[84:87], v[180:183], v26, v43 op_sel_hi:[0,0,0] cbsz:4 blgp:4// 00000000612C: D3AC7000 1802571A D3AD0CB4 8ED2A918
	buffer_load_dwordx4 a[88:91], v62, s[12:15], 0 offen offset:1024// 00000000613C: E05C1400 8083583E
	v_mfma_scale_f32_16x16x128_f8f6f4 v[184:187], a[28:31], v[68:71], v[184:187], v26, v43 op_sel_hi:[0,0,0] cbsz:4 blgp:4// 000000006144: D3AC6800 1802571A D3AD0CB8 8EE2891C
	ds_write_b64 v8, v[204:205] offset:22304                   // 000000006154: D89A5720 0000CC08
	ds_write_b64 v8, v[206:207] offset:31008                   // 00000000615C: D89A7920 0000CE08
	v_mfma_scale_f32_16x16x128_f8f6f4 v[188:191], a[28:31], v[84:87], v[188:191], v26, v43 op_sel_hi:[0,0,0] cbsz:4 blgp:4// 000000006164: D3AC7800 1802571A D3AD0CBC 8EF2A91C
	buffer_load_dwordx4 a[92:95], v63, s[12:15], 0 offen offset:1024// 000000006174: E05C1400 80835C3F
	s_waitcnt vmcnt(34)                                        // 00000000617C: BF8C8F72
	v_mfma_scale_f32_16x16x128_f8f6f4 v[160:163], a[32:35], v[72:75], v[160:163], v27, v44 op_sel_hi:[0,0,0] cbsz:4 blgp:4// 000000006180: D3AC6000 0002591B D3AD0CA0 8E829120
	v_mfma_scale_f32_16x16x128_f8f6f4 v[164:167], a[32:35], v[88:91], v[164:167], v27, v44 op_sel_hi:[0,0,0] cbsz:4 blgp:4// 000000006190: D3AC7000 0002591B D3AD0CA4 8E92B120
	buffer_load_dwordx4 a[96:99], v60, s[12:15], 0 offen offset:2048// 0000000061A0: E05C1800 8083603C
	v_mfma_scale_f32_16x16x128_f8f6f4 v[168:171], a[36:39], v[72:75], v[168:171], v27, v44 op_sel_hi:[0,0,0] cbsz:4 blgp:4// 0000000061A8: D3AC6800 0002591B D3AD0CA8 8EA29124
	v_mfma_scale_f32_16x16x128_f8f6f4 v[172:175], a[36:39], v[88:91], v[172:175], v27, v44 op_sel_hi:[0,0,0] cbsz:4 blgp:4// 0000000061B8: D3AC7800 0002591B D3AD0CAC 8EB2B124
	buffer_load_dwordx4 a[100:103], v61, s[12:15], 0 offen offset:2048// 0000000061C8: E05C1800 8083643D
	s_waitcnt vmcnt(34)                                        // 0000000061D0: BF8C8F72
	v_mfma_scale_f32_16x16x128_f8f6f4 v[176:179], a[40:43], v[72:75], v[176:179], v28, v44 op_sel_hi:[0,0,0] cbsz:4 blgp:4// 0000000061D4: D3AC6000 0002591C D3AD0CB0 8EC29128
	v_mfma_scale_f32_16x16x128_f8f6f4 v[180:183], a[40:43], v[88:91], v[180:183], v28, v44 op_sel_hi:[0,0,0] cbsz:4 blgp:4// 0000000061E4: D3AC7000 0002591C D3AD0CB4 8ED2B128
	buffer_load_dwordx4 a[104:107], v62, s[12:15], 0 offen offset:2048// 0000000061F4: E05C1800 8083683E
	v_mfma_scale_f32_16x16x128_f8f6f4 v[184:187], a[44:47], v[72:75], v[184:187], v28, v44 op_sel_hi:[0,0,0] cbsz:4 blgp:4// 0000000061FC: D3AC6800 0002591C D3AD0CB8 8EE2912C
	v_mfma_scale_f32_16x16x128_f8f6f4 v[188:191], a[44:47], v[88:91], v[188:191], v28, v44 op_sel_hi:[0,0,0] cbsz:4 blgp:4// 00000000620C: D3AC7800 0002591C D3AD0CBC 8EF2B12C
	buffer_load_dwordx4 a[108:111], v63, s[12:15], 0 offen offset:2048// 00000000621C: E05C1800 80836C3F
	s_waitcnt vmcnt(34)                                        // 000000006224: BF8C8F72
	v_mfma_scale_f32_16x16x128_f8f6f4 v[160:163], a[48:51], v[76:79], v[160:163], v27, v44 op_sel_hi:[0,0,0] cbsz:4 blgp:4// 000000006228: D3AC6000 1802591B D3AD0CA0 8E829930
	v_mfma_scale_f32_16x16x128_f8f6f4 v[164:167], a[48:51], v[92:95], v[164:167], v27, v44 op_sel_hi:[0,0,0] cbsz:4 blgp:4// 000000006238: D3AC7000 1802591B D3AD0CA4 8E92B930
	buffer_load_dwordx4 a[112:115], v60, s[12:15], 0 offen offset:3072// 000000006248: E05C1C00 8083703C
	v_mfma_scale_f32_16x16x128_f8f6f4 v[168:171], a[52:55], v[76:79], v[168:171], v27, v44 op_sel_hi:[0,0,0] cbsz:4 blgp:4// 000000006250: D3AC6800 1802591B D3AD0CA8 8EA29934
	v_mfma_scale_f32_16x16x128_f8f6f4 v[172:175], a[52:55], v[92:95], v[172:175], v27, v44 op_sel_hi:[0,0,0] cbsz:4 blgp:4// 000000006260: D3AC7800 1802591B D3AD0CAC 8EB2B934
	buffer_load_dwordx4 a[116:119], v61, s[12:15], 0 offen offset:3072// 000000006270: E05C1C00 8083743D
	s_waitcnt vmcnt(34)                                        // 000000006278: BF8C8F72
	v_mfma_scale_f32_16x16x128_f8f6f4 v[176:179], a[56:59], v[76:79], v[176:179], v28, v44 op_sel_hi:[0,0,0] cbsz:4 blgp:4// 00000000627C: D3AC6000 1802591C D3AD0CB0 8EC29938
	v_mfma_scale_f32_16x16x128_f8f6f4 v[180:183], a[56:59], v[92:95], v[180:183], v28, v44 op_sel_hi:[0,0,0] cbsz:4 blgp:4// 00000000628C: D3AC7000 1802591C D3AD0CB4 8ED2B938
	buffer_load_dwordx4 a[120:123], v62, s[12:15], 0 offen offset:3072// 00000000629C: E05C1C00 8083783E
	v_mfma_scale_f32_16x16x128_f8f6f4 v[184:187], a[60:63], v[76:79], v[184:187], v28, v44 op_sel_hi:[0,0,0] cbsz:4 blgp:4// 0000000062A4: D3AC6800 1802591C D3AD0CB8 8EE2993C
	v_mfma_scale_f32_16x16x128_f8f6f4 v[188:191], a[60:63], v[92:95], v[188:191], v28, v44 op_sel_hi:[0,0,0] cbsz:4 blgp:4// 0000000062B4: D3AC7800 1802591C D3AD0CBC 8EF2B93C
	buffer_load_dwordx4 a[124:127], v63, s[12:15], 0 offen offset:3072// 0000000062C4: E05C1C00 80837C3F
	s_add_u32 s60, 0x200, s80                                  // 0000000062CC: 803C50FF 00000200
	s_cmp_lt_u32 s60, s81                                      // 0000000062D4: BF0A513C
	s_cselect_b32 s56, s56, 0                                  // 0000000062D8: 85388038
	s_cselect_b32 s78, s78, 0                                  // 0000000062DC: 854E804E
	s_cselect_b32 s79, s79, 0                                  // 0000000062E0: 854F804F
	s_add_u32 s12, s56, s12                                    // 0000000062E4: 800C0C38
	s_addc_u32 s13, 0, s13                                     // 0000000062E8: 820D0D80
	s_add_u32 s16, s79, s16                                    // 0000000062EC: 8010104F
	s_addc_u32 s17, 0, s17                                     // 0000000062F0: 82111180
	v_mov_b32_e32 v2, v41                                      // 0000000062F4: 7E040329
	v_mov_b32_e32 v3, v41                                      // 0000000062F8: 7E060329
	v_pk_mul_f32 v[160:161], v[2:3], v[160:161]                // 0000000062FC: D3B140A0 18034102
	v_pk_mul_f32 v[162:163], v[2:3], v[162:163]                // 000000006304: D3B140A2 18034502
	v_pk_mul_f32 v[168:169], v[2:3], v[168:169]                // 00000000630C: D3B140A8 18035102
	v_pk_mul_f32 v[170:171], v[2:3], v[170:171]                // 000000006314: D3B140AA 18035502
	v_pk_mul_f32 v[176:177], v[2:3], v[176:177]                // 00000000631C: D3B140B0 18036102
	v_pk_mul_f32 v[178:179], v[2:3], v[178:179]                // 000000006324: D3B140B2 18036502
	v_pk_mul_f32 v[184:185], v[2:3], v[184:185]                // 00000000632C: D3B140B8 18037102
	v_pk_mul_f32 v[186:187], v[2:3], v[186:187]                // 000000006334: D3B140BA 18037502
	v_mov_b32_e32 v2, v42                                      // 00000000633C: 7E04032A
	v_mov_b32_e32 v3, v42                                      // 000000006340: 7E06032A
	v_pk_mul_f32 v[164:165], v[2:3], v[164:165]                // 000000006344: D3B140A4 18034902
	v_pk_mul_f32 v[166:167], v[2:3], v[166:167]                // 00000000634C: D3B140A6 18034D02
	v_pk_mul_f32 v[172:173], v[2:3], v[172:173]                // 000000006354: D3B140AC 18035902
	v_pk_mul_f32 v[174:175], v[2:3], v[174:175]                // 00000000635C: D3B140AE 18035D02
	v_pk_mul_f32 v[180:181], v[2:3], v[180:181]                // 000000006364: D3B140B4 18036902
	v_pk_mul_f32 v[182:183], v[2:3], v[182:183]                // 00000000636C: D3B140B6 18036D02
	v_pk_mul_f32 v[188:189], v[2:3], v[188:189]                // 000000006374: D3B140BC 18037902
	v_pk_mul_f32 v[190:191], v[2:3], v[190:191]                // 00000000637C: D3B140BE 18037D02
	v_cvt_pkrtz_f16_f32 v160, v160, v161                       // 000000006384: D29600A0 000343A0
	v_cvt_pkrtz_f16_f32 v161, v162, v163                       // 00000000638C: D29600A1 000347A2
	v_cvt_pkrtz_f16_f32 v162, v164, v165                       // 000000006394: D29600A2 00034BA4
	v_cvt_pkrtz_f16_f32 v163, v166, v167                       // 00000000639C: D29600A3 00034FA6
	v_cvt_pkrtz_f16_f32 v164, v168, v169                       // 0000000063A4: D29600A4 000353A8
	v_cvt_pkrtz_f16_f32 v165, v170, v171                       // 0000000063AC: D29600A5 000357AA
	v_cvt_pkrtz_f16_f32 v166, v172, v173                       // 0000000063B4: D29600A6 00035BAC
	v_cvt_pkrtz_f16_f32 v167, v174, v175                       // 0000000063BC: D29600A7 00035FAE
	v_cvt_pkrtz_f16_f32 v168, v176, v177                       // 0000000063C4: D29600A8 000363B0
	v_cvt_pkrtz_f16_f32 v169, v178, v179                       // 0000000063CC: D29600A9 000367B2
	v_cvt_pkrtz_f16_f32 v170, v180, v181                       // 0000000063D4: D29600AA 00036BB4
	v_cvt_pkrtz_f16_f32 v171, v182, v183                       // 0000000063DC: D29600AB 00036FB6
	v_cvt_pkrtz_f16_f32 v172, v184, v185                       // 0000000063E4: D29600AC 000373B8
	v_cvt_pkrtz_f16_f32 v173, v186, v187                       // 0000000063EC: D29600AD 000377BA
	v_cvt_pkrtz_f16_f32 v174, v188, v189                       // 0000000063F4: D29600AE 00037BBC
	v_cvt_pkrtz_f16_f32 v175, v190, v191                       // 0000000063FC: D29600AF 00037FBE
	s_cmp_ge_u32 s80, 0x200                                    // 000000006404: BF09FF50 00000200
	s_cselect_b32 s59, 0x200, s59                              // 00000000640C: 853B3BFF 00000200
	s_mov_b64 exec, s[20:21]                                   // 000000006414: BEFE0114
	global_atomic_pk_add_f16 v144, v128, s[8:9]                // 000000006418: DD388000 00088090
	s_mov_b64 exec, s[36:37]                                   // 000000006420: BEFE0124
	s_mov_b64 exec, s[20:21]                                   // 000000006424: BEFE0114
	global_atomic_pk_add_f16 v144, v129, s[8:9] offset:256     // 000000006428: DD388100 00088190
	s_mov_b64 exec, s[36:37]                                   // 000000006430: BEFE0124
	s_mov_b64 exec, s[22:23]                                   // 000000006434: BEFE0116
	global_atomic_pk_add_f16 v146, v130, s[8:9]                // 000000006438: DD388000 00088292
	s_mov_b64 exec, s[36:37]                                   // 000000006440: BEFE0124
	s_mov_b64 exec, s[22:23]                                   // 000000006444: BEFE0116
	global_atomic_pk_add_f16 v146, v131, s[8:9] offset:256     // 000000006448: DD388100 00088392
	s_mov_b64 exec, s[36:37]                                   // 000000006450: BEFE0124
	s_mov_b64 exec, s[24:25]                                   // 000000006454: BEFE0118
	global_atomic_pk_add_f16 v148, v132, s[8:9]                // 000000006458: DD388000 00088494
	s_mov_b64 exec, s[36:37]                                   // 000000006460: BEFE0124
	s_mov_b64 exec, s[24:25]                                   // 000000006464: BEFE0118
	global_atomic_pk_add_f16 v148, v133, s[8:9] offset:256     // 000000006468: DD388100 00088594
	s_mov_b64 exec, s[36:37]                                   // 000000006470: BEFE0124
	s_mov_b64 exec, s[26:27]                                   // 000000006474: BEFE011A
	global_atomic_pk_add_f16 v150, v134, s[8:9]                // 000000006478: DD388000 00088696
	s_mov_b64 exec, s[36:37]                                   // 000000006480: BEFE0124
	s_mov_b64 exec, s[26:27]                                   // 000000006484: BEFE011A
	global_atomic_pk_add_f16 v150, v135, s[8:9] offset:256     // 000000006488: DD388100 00088796
	s_mov_b64 exec, s[36:37]                                   // 000000006490: BEFE0124
	s_mov_b64 exec, s[28:29]                                   // 000000006494: BEFE011C
	global_atomic_pk_add_f16 v152, v136, s[8:9]                // 000000006498: DD388000 00088898
	s_mov_b64 exec, s[36:37]                                   // 0000000064A0: BEFE0124
	s_mov_b64 exec, s[28:29]                                   // 0000000064A4: BEFE011C
	global_atomic_pk_add_f16 v152, v137, s[8:9] offset:256     // 0000000064A8: DD388100 00088998
	s_mov_b64 exec, s[36:37]                                   // 0000000064B0: BEFE0124
	s_mov_b64 exec, s[30:31]                                   // 0000000064B4: BEFE011E
	global_atomic_pk_add_f16 v154, v138, s[8:9]                // 0000000064B8: DD388000 00088A9A
	s_mov_b64 exec, s[36:37]                                   // 0000000064C0: BEFE0124
	s_mov_b64 exec, s[30:31]                                   // 0000000064C4: BEFE011E
	global_atomic_pk_add_f16 v154, v139, s[8:9] offset:256     // 0000000064C8: DD388100 00088B9A
	s_mov_b64 exec, s[36:37]                                   // 0000000064D0: BEFE0124
	s_mov_b64 exec, s[32:33]                                   // 0000000064D4: BEFE0120
	global_atomic_pk_add_f16 v156, v140, s[8:9]                // 0000000064D8: DD388000 00088C9C
	s_mov_b64 exec, s[36:37]                                   // 0000000064E0: BEFE0124
	s_mov_b64 exec, s[32:33]                                   // 0000000064E4: BEFE0120
	global_atomic_pk_add_f16 v156, v141, s[8:9] offset:256     // 0000000064E8: DD388100 00088D9C
	s_mov_b64 exec, s[36:37]                                   // 0000000064F0: BEFE0124
	s_mov_b64 exec, s[34:35]                                   // 0000000064F4: BEFE0122
	global_atomic_pk_add_f16 v158, v142, s[8:9]                // 0000000064F8: DD388000 00088E9E
	s_mov_b64 exec, s[36:37]                                   // 000000006500: BEFE0124
	s_mov_b64 exec, s[34:35]                                   // 000000006504: BEFE0122
	global_atomic_pk_add_f16 v158, v143, s[8:9] offset:256     // 000000006508: DD388100 00088F9E
	s_mov_b64 exec, s[36:37]                                   // 000000006510: BEFE0124
	s_add_u32 s8, s59, s8                                      // 000000006514: 8008083B
	s_addc_u32 s9, 0, s9                                       // 000000006518: 82090980
	s_addk_i32 s80, 0x100                                      // 00000000651C: B7500100
	s_cmp_lt_i32 s80, s81                                      // 000000006520: BF045150
	s_cbranch_scc0 label_0F47                                  // 000000006524: BF84017D
	s_waitcnt vmcnt(30) lgkmcnt(0)                             // 000000006528: BF8C407E
	s_barrier                                                  // 00000000652C: BF8A0000
	v_mfma_scale_f32_16x16x128_f8f6f4 v[192:195], a[64:67], v[64:67], 0, v29, v43 op_sel_hi:[0,0,0] cbsz:4 blgp:4// 000000006530: D3AC6000 0002571D D3AD0CC0 8A028140
	ds_read_b32 v128, v9 offset:17408                          // 000000006540: D86C4400 80000009
	ds_read_b32 v129, v9 offset:21760                          // 000000006548: D86C5500 81000009
	ds_read_b32 v130, v9 offset:17416                          // 000000006550: D86C4408 82000009
	ds_read_b32 v131, v9 offset:21768                          // 000000006558: D86C5508 83000009
	v_mfma_scale_f32_16x16x128_f8f6f4 v[196:199], a[64:67], v[80:83], 0, v29, v43 op_sel_hi:[0,0,0] cbsz:4 blgp:4// 000000006560: D3AC7000 0002571D D3AD0CC4 8A02A140
	buffer_load_dwordx4 a[0:3], v60, s[12:15], 0 offen         // 000000006570: E05C1000 8083003C
	v_mfma_scale_f32_16x16x128_f8f6f4 v[200:203], a[68:71], v[64:67], 0, v29, v43 op_sel_hi:[0,0,0] cbsz:4 blgp:4// 000000006578: D3AC6800 0002571D D3AD0CC8 8A028144
	ds_read_b32 v132, v9 offset:17440                          // 000000006588: D86C4420 84000009
	ds_read_b32 v133, v9 offset:21792                          // 000000006590: D86C5520 85000009
	ds_read_b32 v134, v9 offset:17448                          // 000000006598: D86C4428 86000009
	ds_read_b32 v135, v9 offset:21800                          // 0000000065A0: D86C5528 87000009
	v_mfma_scale_f32_16x16x128_f8f6f4 v[204:207], a[68:71], v[80:83], 0, v29, v43 op_sel_hi:[0,0,0] cbsz:4 blgp:4// 0000000065A8: D3AC7800 0002571D D3AD0CCC 8A02A144
	buffer_load_dwordx4 a[4:7], v61, s[12:15], 0 offen         // 0000000065B8: E05C1000 8083043D
	buffer_load_dword v25, v10, s[16:19], 0 offen              // 0000000065C0: E0501000 8004190A
	buffer_load_dword v26, v11, s[16:19], 0 offen              // 0000000065C8: E0501000 80041A0B
	buffer_load_dword v27, v10, s[16:19], 0 offen offset:256   // 0000000065D0: E0501100 80041B0A
	buffer_load_dword v28, v11, s[16:19], 0 offen offset:256   // 0000000065D8: E0501100 80041C0B
	s_waitcnt vmcnt(34)                                        // 0000000065E0: BF8C8F72
	v_mfma_scale_f32_16x16x128_f8f6f4 v[208:211], a[72:75], v[64:67], 0, v30, v43 op_sel_hi:[0,0,0] cbsz:4 blgp:4// 0000000065E4: D3AC6000 0002571E D3AD0CD0 8A028148
	ds_read_b32 v136, v9 offset:26112                          // 0000000065F4: D86C6600 88000009
	ds_read_b32 v137, v9 offset:30464                          // 0000000065FC: D86C7700 89000009
	ds_read_b32 v138, v9 offset:26120                          // 000000006604: D86C6608 8A000009
	ds_read_b32 v139, v9 offset:30472                          // 00000000660C: D86C7708 8B000009
	v_mfma_scale_f32_16x16x128_f8f6f4 v[212:215], a[72:75], v[80:83], 0, v30, v43 op_sel_hi:[0,0,0] cbsz:4 blgp:4// 000000006614: D3AC7000 0002571E D3AD0CD4 8A02A148
	buffer_load_dwordx4 a[8:11], v62, s[12:15], 0 offen        // 000000006624: E05C1000 8083083E
	v_mfma_scale_f32_16x16x128_f8f6f4 v[216:219], a[76:79], v[64:67], 0, v30, v43 op_sel_hi:[0,0,0] cbsz:4 blgp:4// 00000000662C: D3AC6800 0002571E D3AD0CD8 8A02814C
	ds_read_b32 v140, v9 offset:26144                          // 00000000663C: D86C6620 8C000009
	ds_read_b32 v141, v9 offset:30496                          // 000000006644: D86C7720 8D000009
	ds_read_b32 v142, v9 offset:26152                          // 00000000664C: D86C6628 8E000009
	ds_read_b32 v143, v9 offset:30504                          // 000000006654: D86C7728 8F000009
	v_mfma_scale_f32_16x16x128_f8f6f4 v[220:223], a[76:79], v[80:83], 0, v30, v43 op_sel_hi:[0,0,0] cbsz:4 blgp:4// 00000000665C: D3AC7800 0002571E D3AD0CDC 8A02A14C
	buffer_load_dwordx4 a[12:15], v63, s[12:15], 0 offen       // 00000000666C: E05C1000 80830C3F
	buffer_load_dword v27, v10, s[16:19], 0 offen offset:256   // 000000006674: E0501100 80041B0A
	buffer_load_dword v28, v11, s[16:19], 0 offen offset:256   // 00000000667C: E0501100 80041C0B
	s_waitcnt vmcnt(34)                                        // 000000006684: BF8C8F72
	v_mfma_scale_f32_16x16x128_f8f6f4 v[192:195], a[80:83], v[68:71], v[192:195], v29, v43 op_sel_hi:[0,0,0] cbsz:4 blgp:4// 000000006688: D3AC6000 1802571D D3AD0CC0 8F028950
	ds_write_b64 v8, v[160:161]                                // 000000006698: D89A0000 0000A008
	ds_write_b64 v8, v[162:163] offset:8704                    // 0000000066A0: D89A2200 0000A208
	v_mfma_scale_f32_16x16x128_f8f6f4 v[196:199], a[80:83], v[84:87], v[196:199], v29, v43 op_sel_hi:[0,0,0] cbsz:4 blgp:4// 0000000066A8: D3AC7000 1802571D D3AD0CC4 8F12A950
	buffer_load_dwordx4 a[16:19], v60, s[12:15], 0 offen offset:1024// 0000000066B8: E05C1400 8083103C
	v_mfma_scale_f32_16x16x128_f8f6f4 v[200:203], a[84:87], v[68:71], v[200:203], v29, v43 op_sel_hi:[0,0,0] cbsz:4 blgp:4// 0000000066C0: D3AC6800 1802571D D3AD0CC8 8F228954
	ds_write_b64 v8, v[164:165] offset:544                     // 0000000066D0: D89A0220 0000A408
	ds_write_b64 v8, v[166:167] offset:9248                    // 0000000066D8: D89A2420 0000A608
	v_mfma_scale_f32_16x16x128_f8f6f4 v[204:207], a[84:87], v[84:87], v[204:207], v29, v43 op_sel_hi:[0,0,0] cbsz:4 blgp:4// 0000000066E0: D3AC7800 1802571D D3AD0CCC 8F32A954
	buffer_load_dwordx4 a[20:23], v61, s[12:15], 0 offen offset:1024// 0000000066F0: E05C1400 8083143D
	s_waitcnt vmcnt(34)                                        // 0000000066F8: BF8C8F72
	v_mfma_scale_f32_16x16x128_f8f6f4 v[208:211], a[88:91], v[68:71], v[208:211], v30, v43 op_sel_hi:[0,0,0] cbsz:4 blgp:4// 0000000066FC: D3AC6000 1802571E D3AD0CD0 8F428958
	ds_write_b64 v8, v[168:169] offset:4352                    // 00000000670C: D89A1100 0000A808
	ds_write_b64 v8, v[170:171] offset:13056                   // 000000006714: D89A3300 0000AA08
	v_mfma_scale_f32_16x16x128_f8f6f4 v[212:215], a[88:91], v[84:87], v[212:215], v30, v43 op_sel_hi:[0,0,0] cbsz:4 blgp:4// 00000000671C: D3AC7000 1802571E D3AD0CD4 8F52A958
	buffer_load_dwordx4 a[24:27], v62, s[12:15], 0 offen offset:1024// 00000000672C: E05C1400 8083183E
	v_mfma_scale_f32_16x16x128_f8f6f4 v[216:219], a[92:95], v[68:71], v[216:219], v30, v43 op_sel_hi:[0,0,0] cbsz:4 blgp:4// 000000006734: D3AC6800 1802571E D3AD0CD8 8F62895C
	ds_write_b64 v8, v[172:173] offset:4896                    // 000000006744: D89A1320 0000AC08
	ds_write_b64 v8, v[174:175] offset:13600                   // 00000000674C: D89A3520 0000AE08
	v_mfma_scale_f32_16x16x128_f8f6f4 v[220:223], a[92:95], v[84:87], v[220:223], v30, v43 op_sel_hi:[0,0,0] cbsz:4 blgp:4// 000000006754: D3AC7800 1802571E D3AD0CDC 8F72A95C
	buffer_load_dwordx4 a[28:31], v63, s[12:15], 0 offen offset:1024// 000000006764: E05C1400 80831C3F
	s_waitcnt vmcnt(34)                                        // 00000000676C: BF8C8F72
	v_mfma_scale_f32_16x16x128_f8f6f4 v[192:195], a[96:99], v[72:75], v[192:195], v31, v44 op_sel_hi:[0,0,0] cbsz:4 blgp:4// 000000006770: D3AC6000 0002591F D3AD0CC0 8F029160
	v_mfma_scale_f32_16x16x128_f8f6f4 v[196:199], a[96:99], v[88:91], v[196:199], v31, v44 op_sel_hi:[0,0,0] cbsz:4 blgp:4// 000000006780: D3AC7000 0002591F D3AD0CC4 8F12B160
	buffer_load_dwordx4 a[32:35], v60, s[12:15], 0 offen offset:2048// 000000006790: E05C1800 8083203C
	v_mfma_scale_f32_16x16x128_f8f6f4 v[200:203], a[100:103], v[72:75], v[200:203], v31, v44 op_sel_hi:[0,0,0] cbsz:4 blgp:4// 000000006798: D3AC6800 0002591F D3AD0CC8 8F229164
	v_mfma_scale_f32_16x16x128_f8f6f4 v[204:207], a[100:103], v[88:91], v[204:207], v31, v44 op_sel_hi:[0,0,0] cbsz:4 blgp:4// 0000000067A8: D3AC7800 0002591F D3AD0CCC 8F32B164
	buffer_load_dwordx4 a[36:39], v61, s[12:15], 0 offen offset:2048// 0000000067B8: E05C1800 8083243D
	s_waitcnt vmcnt(34)                                        // 0000000067C0: BF8C8F72
	v_mfma_scale_f32_16x16x128_f8f6f4 v[208:211], a[104:107], v[72:75], v[208:211], v32, v44 op_sel_hi:[0,0,0] cbsz:4 blgp:4// 0000000067C4: D3AC6000 00025920 D3AD0CD0 8F429168
	v_mfma_scale_f32_16x16x128_f8f6f4 v[212:215], a[104:107], v[88:91], v[212:215], v32, v44 op_sel_hi:[0,0,0] cbsz:4 blgp:4// 0000000067D4: D3AC7000 00025920 D3AD0CD4 8F52B168
	buffer_load_dwordx4 a[40:43], v62, s[12:15], 0 offen offset:2048// 0000000067E4: E05C1800 8083283E
	v_mfma_scale_f32_16x16x128_f8f6f4 v[216:219], a[108:111], v[72:75], v[216:219], v32, v44 op_sel_hi:[0,0,0] cbsz:4 blgp:4// 0000000067EC: D3AC6800 00025920 D3AD0CD8 8F62916C
	v_mfma_scale_f32_16x16x128_f8f6f4 v[220:223], a[108:111], v[88:91], v[220:223], v32, v44 op_sel_hi:[0,0,0] cbsz:4 blgp:4// 0000000067FC: D3AC7800 00025920 D3AD0CDC 8F72B16C
	buffer_load_dwordx4 a[44:47], v63, s[12:15], 0 offen offset:2048// 00000000680C: E05C1800 80832C3F
	s_waitcnt vmcnt(34)                                        // 000000006814: BF8C8F72
	v_mfma_scale_f32_16x16x128_f8f6f4 v[192:195], a[112:115], v[76:79], v[192:195], v31, v44 op_sel_hi:[0,0,0] cbsz:4 blgp:4// 000000006818: D3AC6000 1802591F D3AD0CC0 8F029970
	v_mfma_scale_f32_16x16x128_f8f6f4 v[196:199], a[112:115], v[92:95], v[196:199], v31, v44 op_sel_hi:[0,0,0] cbsz:4 blgp:4// 000000006828: D3AC7000 1802591F D3AD0CC4 8F12B970
	buffer_load_dwordx4 a[48:51], v60, s[12:15], 0 offen offset:3072// 000000006838: E05C1C00 8083303C
	v_mfma_scale_f32_16x16x128_f8f6f4 v[200:203], a[116:119], v[76:79], v[200:203], v31, v44 op_sel_hi:[0,0,0] cbsz:4 blgp:4// 000000006840: D3AC6800 1802591F D3AD0CC8 8F229974
	v_mfma_scale_f32_16x16x128_f8f6f4 v[204:207], a[116:119], v[92:95], v[204:207], v31, v44 op_sel_hi:[0,0,0] cbsz:4 blgp:4// 000000006850: D3AC7800 1802591F D3AD0CCC 8F32B974
	buffer_load_dwordx4 a[52:55], v61, s[12:15], 0 offen offset:3072// 000000006860: E05C1C00 8083343D
	s_waitcnt vmcnt(34)                                        // 000000006868: BF8C8F72
	v_mfma_scale_f32_16x16x128_f8f6f4 v[208:211], a[120:123], v[76:79], v[208:211], v32, v44 op_sel_hi:[0,0,0] cbsz:4 blgp:4// 00000000686C: D3AC6000 18025920 D3AD0CD0 8F429978
	v_mfma_scale_f32_16x16x128_f8f6f4 v[212:215], a[120:123], v[92:95], v[212:215], v32, v44 op_sel_hi:[0,0,0] cbsz:4 blgp:4// 00000000687C: D3AC7000 18025920 D3AD0CD4 8F52B978
	buffer_load_dwordx4 a[56:59], v62, s[12:15], 0 offen offset:3072// 00000000688C: E05C1C00 8083383E
	v_mfma_scale_f32_16x16x128_f8f6f4 v[216:219], a[124:127], v[76:79], v[216:219], v32, v44 op_sel_hi:[0,0,0] cbsz:4 blgp:4// 000000006894: D3AC6800 18025920 D3AD0CD8 8F62997C
	v_mfma_scale_f32_16x16x128_f8f6f4 v[220:223], a[124:127], v[92:95], v[220:223], v32, v44 op_sel_hi:[0,0,0] cbsz:4 blgp:4// 0000000068A4: D3AC7800 18025920 D3AD0CDC 8F72B97C
	buffer_load_dwordx4 a[60:63], v63, s[12:15], 0 offen offset:3072// 0000000068B4: E05C1C00 80833C3F
	s_add_u32 s60, 0x200, s80                                  // 0000000068BC: 803C50FF 00000200
	s_cmp_lt_u32 s60, s81                                      // 0000000068C4: BF0A513C
	s_cselect_b32 s56, s56, 0                                  // 0000000068C8: 85388038
	s_cselect_b32 s78, s78, 0                                  // 0000000068CC: 854E804E
	s_cselect_b32 s79, s79, 0                                  // 0000000068D0: 854F804F
	s_add_u32 s12, s56, s12                                    // 0000000068D4: 800C0C38
	s_addc_u32 s13, 0, s13                                     // 0000000068D8: 820D0D80
	s_add_u32 s16, s79, s16                                    // 0000000068DC: 8010104F
	s_addc_u32 s17, 0, s17                                     // 0000000068E0: 82111180
	v_mov_b32_e32 v2, v41                                      // 0000000068E4: 7E040329
	v_mov_b32_e32 v3, v41                                      // 0000000068E8: 7E060329
	v_pk_mul_f32 v[192:193], v[2:3], v[192:193]                // 0000000068EC: D3B140C0 18038102
	v_pk_mul_f32 v[194:195], v[2:3], v[194:195]                // 0000000068F4: D3B140C2 18038502
	v_pk_mul_f32 v[200:201], v[2:3], v[200:201]                // 0000000068FC: D3B140C8 18039102
	v_pk_mul_f32 v[202:203], v[2:3], v[202:203]                // 000000006904: D3B140CA 18039502
	v_pk_mul_f32 v[208:209], v[2:3], v[208:209]                // 00000000690C: D3B140D0 1803A102
	v_pk_mul_f32 v[210:211], v[2:3], v[210:211]                // 000000006914: D3B140D2 1803A502
	v_pk_mul_f32 v[216:217], v[2:3], v[216:217]                // 00000000691C: D3B140D8 1803B102
	v_pk_mul_f32 v[218:219], v[2:3], v[218:219]                // 000000006924: D3B140DA 1803B502
	v_mov_b32_e32 v2, v42                                      // 00000000692C: 7E04032A
	v_mov_b32_e32 v3, v42                                      // 000000006930: 7E06032A
	v_pk_mul_f32 v[196:197], v[2:3], v[196:197]                // 000000006934: D3B140C4 18038902
	v_pk_mul_f32 v[198:199], v[2:3], v[198:199]                // 00000000693C: D3B140C6 18038D02
	v_pk_mul_f32 v[204:205], v[2:3], v[204:205]                // 000000006944: D3B140CC 18039902
	v_pk_mul_f32 v[206:207], v[2:3], v[206:207]                // 00000000694C: D3B140CE 18039D02
	v_pk_mul_f32 v[212:213], v[2:3], v[212:213]                // 000000006954: D3B140D4 1803A902
	v_pk_mul_f32 v[214:215], v[2:3], v[214:215]                // 00000000695C: D3B140D6 1803AD02
	v_pk_mul_f32 v[220:221], v[2:3], v[220:221]                // 000000006964: D3B140DC 1803B902
	v_pk_mul_f32 v[222:223], v[2:3], v[222:223]                // 00000000696C: D3B140DE 1803BD02
	v_cvt_pkrtz_f16_f32 v192, v192, v193                       // 000000006974: D29600C0 000383C0
	v_cvt_pkrtz_f16_f32 v193, v194, v195                       // 00000000697C: D29600C1 000387C2
	v_cvt_pkrtz_f16_f32 v194, v196, v197                       // 000000006984: D29600C2 00038BC4
	v_cvt_pkrtz_f16_f32 v195, v198, v199                       // 00000000698C: D29600C3 00038FC6
	v_cvt_pkrtz_f16_f32 v196, v200, v201                       // 000000006994: D29600C4 000393C8
	v_cvt_pkrtz_f16_f32 v197, v202, v203                       // 00000000699C: D29600C5 000397CA
	v_cvt_pkrtz_f16_f32 v198, v204, v205                       // 0000000069A4: D29600C6 00039BCC
	v_cvt_pkrtz_f16_f32 v199, v206, v207                       // 0000000069AC: D29600C7 00039FCE
	v_cvt_pkrtz_f16_f32 v200, v208, v209                       // 0000000069B4: D29600C8 0003A3D0
	v_cvt_pkrtz_f16_f32 v201, v210, v211                       // 0000000069BC: D29600C9 0003A7D2
	v_cvt_pkrtz_f16_f32 v202, v212, v213                       // 0000000069C4: D29600CA 0003ABD4
	v_cvt_pkrtz_f16_f32 v203, v214, v215                       // 0000000069CC: D29600CB 0003AFD6
	v_cvt_pkrtz_f16_f32 v204, v216, v217                       // 0000000069D4: D29600CC 0003B3D8
	v_cvt_pkrtz_f16_f32 v205, v218, v219                       // 0000000069DC: D29600CD 0003B7DA
	v_cvt_pkrtz_f16_f32 v206, v220, v221                       // 0000000069E4: D29600CE 0003BBDC
	v_cvt_pkrtz_f16_f32 v207, v222, v223                       // 0000000069EC: D29600CF 0003BFDE
	s_cmp_ge_u32 s80, 0x200                                    // 0000000069F4: BF09FF50 00000200
	s_cselect_b32 s59, 0x200, s59                              // 0000000069FC: 853B3BFF 00000200
	s_mov_b64 exec, s[20:21]                                   // 000000006A04: BEFE0114
	global_atomic_pk_add_f16 v144, v128, s[8:9]                // 000000006A08: DD388000 00088090
	s_mov_b64 exec, s[36:37]                                   // 000000006A10: BEFE0124
	s_mov_b64 exec, s[20:21]                                   // 000000006A14: BEFE0114
	global_atomic_pk_add_f16 v144, v129, s[8:9] offset:256     // 000000006A18: DD388100 00088190
	s_mov_b64 exec, s[36:37]                                   // 000000006A20: BEFE0124
	s_mov_b64 exec, s[22:23]                                   // 000000006A24: BEFE0116
	global_atomic_pk_add_f16 v146, v130, s[8:9]                // 000000006A28: DD388000 00088292
	s_mov_b64 exec, s[36:37]                                   // 000000006A30: BEFE0124
	s_mov_b64 exec, s[22:23]                                   // 000000006A34: BEFE0116
	global_atomic_pk_add_f16 v146, v131, s[8:9] offset:256     // 000000006A38: DD388100 00088392
	s_mov_b64 exec, s[36:37]                                   // 000000006A40: BEFE0124
	s_mov_b64 exec, s[24:25]                                   // 000000006A44: BEFE0118
	global_atomic_pk_add_f16 v148, v132, s[8:9]                // 000000006A48: DD388000 00088494
	s_mov_b64 exec, s[36:37]                                   // 000000006A50: BEFE0124
	s_mov_b64 exec, s[24:25]                                   // 000000006A54: BEFE0118
	global_atomic_pk_add_f16 v148, v133, s[8:9] offset:256     // 000000006A58: DD388100 00088594
	s_mov_b64 exec, s[36:37]                                   // 000000006A60: BEFE0124
	s_mov_b64 exec, s[26:27]                                   // 000000006A64: BEFE011A
	global_atomic_pk_add_f16 v150, v134, s[8:9]                // 000000006A68: DD388000 00088696
	s_mov_b64 exec, s[36:37]                                   // 000000006A70: BEFE0124
	s_mov_b64 exec, s[26:27]                                   // 000000006A74: BEFE011A
	global_atomic_pk_add_f16 v150, v135, s[8:9] offset:256     // 000000006A78: DD388100 00088796
	s_mov_b64 exec, s[36:37]                                   // 000000006A80: BEFE0124
	s_mov_b64 exec, s[28:29]                                   // 000000006A84: BEFE011C
	global_atomic_pk_add_f16 v152, v136, s[8:9]                // 000000006A88: DD388000 00088898
	s_mov_b64 exec, s[36:37]                                   // 000000006A90: BEFE0124
	s_mov_b64 exec, s[28:29]                                   // 000000006A94: BEFE011C
	global_atomic_pk_add_f16 v152, v137, s[8:9] offset:256     // 000000006A98: DD388100 00088998
	s_mov_b64 exec, s[36:37]                                   // 000000006AA0: BEFE0124
	s_mov_b64 exec, s[30:31]                                   // 000000006AA4: BEFE011E
	global_atomic_pk_add_f16 v154, v138, s[8:9]                // 000000006AA8: DD388000 00088A9A
	s_mov_b64 exec, s[36:37]                                   // 000000006AB0: BEFE0124
	s_mov_b64 exec, s[30:31]                                   // 000000006AB4: BEFE011E
	global_atomic_pk_add_f16 v154, v139, s[8:9] offset:256     // 000000006AB8: DD388100 00088B9A
	s_mov_b64 exec, s[36:37]                                   // 000000006AC0: BEFE0124
	s_mov_b64 exec, s[32:33]                                   // 000000006AC4: BEFE0120
	global_atomic_pk_add_f16 v156, v140, s[8:9]                // 000000006AC8: DD388000 00088C9C
	s_mov_b64 exec, s[36:37]                                   // 000000006AD0: BEFE0124
	s_mov_b64 exec, s[32:33]                                   // 000000006AD4: BEFE0120
	global_atomic_pk_add_f16 v156, v141, s[8:9] offset:256     // 000000006AD8: DD388100 00088D9C
	s_mov_b64 exec, s[36:37]                                   // 000000006AE0: BEFE0124
	s_mov_b64 exec, s[34:35]                                   // 000000006AE4: BEFE0122
	global_atomic_pk_add_f16 v158, v142, s[8:9]                // 000000006AE8: DD388000 00088E9E
	s_mov_b64 exec, s[36:37]                                   // 000000006AF0: BEFE0124
	s_mov_b64 exec, s[34:35]                                   // 000000006AF4: BEFE0122
	global_atomic_pk_add_f16 v158, v143, s[8:9] offset:256     // 000000006AF8: DD388100 00088F9E
	s_mov_b64 exec, s[36:37]                                   // 000000006B00: BEFE0124
	s_add_u32 s8, s59, s8                                      // 000000006B04: 8008083B
	s_addc_u32 s9, 0, s9                                       // 000000006B08: 82090980
	s_addk_i32 s80, 0x100                                      // 000000006B0C: B7500100
	s_cmp_lt_i32 s80, s81                                      // 000000006B10: BF045150
	s_cbranch_scc0 label_0F47                                  // 000000006B14: BF840001
	s_branch label_0C4E                                        // 000000006B18: BF82FD07

0000000000006b1c <label_0F47>:
	s_nop 0                                                    // 000000006B1C: BF800000
	s_nop 0                                                    // 000000006B20: BF800000
	s_branch label_1BAE                                        // 000000006B24: BF820C64

0000000000006b28 <label_0F4A>:
	s_waitcnt vmcnt(14) lgkmcnt(0)                             // 000000006B28: BF8C007E
	s_barrier                                                  // 000000006B2C: BF8A0000
	v_mfma_scale_f32_16x16x128_f8f6f4 v[64:67], a[0:3], v[192:195], v[64:67], v25, v23 op_sel_hi:[0,0,0] cbsz:4 blgp:4// 000000006B30: D3AC6000 00022F19 D3AD0C40 8D038100
	buffer_load_dwordx4 a[64:67], v52, s[92:95], 0 offen       // 000000006B40: E05C1000 80974034
	buffer_load_dwordx4 v51, s[20:23], 0 offen lds             // 000000006B48: E05D1000 80050033
	s_add_u32 m0, 0, s50                                       // 000000006B50: 807C3280
	v_mfma_scale_f32_16x16x128_f8f6f4 v[96:99], a[0:3], v[200:203], v[96:99], v25, v23 op_sel_hi:[0,0,0] cbsz:4 blgp:4// 000000006B54: D3AC7000 00022F19 D3AD0C60 8D839100
	v_mfma_scale_f32_16x16x128_f8f6f4 v[68:71], a[4:7], v[192:195], v[68:71], v25, v23 op_sel_hi:[0,0,0] cbsz:4 blgp:4// 000000006B64: D3AC6800 00022F19 D3AD0C44 8D138104
	buffer_load_dwordx4 a[68:71], v53, s[92:95], 0 offen       // 000000006B74: E05C1000 80974435
	buffer_load_dword v24, v12, s[28:31], 0 offen              // 000000006B7C: E0501000 8007180C
	buffer_load_dword v33, v19, s[32:35], 0 offen              // 000000006B84: E0501000 80082113
	buffer_load_dword v34, v20, s[32:35], 0 offen              // 000000006B8C: E0501000 80082214
	buffer_load_dword v35, v21, s[32:35], 0 offen              // 000000006B94: E0501000 80082315
	buffer_load_dword v36, v22, s[32:35], 0 offen              // 000000006B9C: E0501000 80082416
	v_mfma_scale_f32_16x16x128_f8f6f4 v[100:103], a[4:7], v[200:203], v[100:103], v25, v23 op_sel_hi:[0,0,0] cbsz:4 blgp:4// 000000006BA4: D3AC7800 00022F19 D3AD0C64 8D939104
	s_waitcnt vmcnt(20)                                        // 000000006BB4: BF8C4F74
	v_mfma_scale_f32_16x16x128_f8f6f4 v[72:75], a[8:11], v[192:195], v[72:75], v26, v23 op_sel_hi:[0,0,0] cbsz:4 blgp:4// 000000006BB8: D3AC6000 00022F1A D3AD0C48 8D238108
	buffer_load_dwordx4 a[72:75], v54, s[92:95], 0 offen       // 000000006BC8: E05C1000 80974836
	v_mfma_scale_f32_16x16x128_f8f6f4 v[104:107], a[8:11], v[200:203], v[104:107], v26, v23 op_sel_hi:[0,0,0] cbsz:4 blgp:4// 000000006BD0: D3AC7000 00022F1A D3AD0C68 8DA39108
	v_mfma_scale_f32_16x16x128_f8f6f4 v[76:79], a[12:15], v[192:195], v[76:79], v26, v23 op_sel_hi:[0,0,0] cbsz:4 blgp:4// 000000006BE0: D3AC6800 00022F1A D3AD0C4C 8D33810C
	buffer_load_dwordx4 a[76:79], v55, s[92:95], 0 offen       // 000000006BF0: E05C1000 80974C37
	v_mfma_scale_f32_16x16x128_f8f6f4 v[108:111], a[12:15], v[200:203], v[108:111], v26, v23 op_sel_hi:[0,0,0] cbsz:4 blgp:4// 000000006BF8: D3AC7800 00022F1A D3AD0C6C 8DB3910C
	s_waitcnt vmcnt(20)                                        // 000000006C08: BF8C4F74
	v_mfma_scale_f32_16x16x128_f8f6f4 v[80:83], a[16:19], v[192:195], v[80:83], v27, v23 op_sel_hi:[0,0,0] cbsz:4 blgp:4// 000000006C0C: D3AC6000 00022F1B D3AD0C50 8D438110
	buffer_load_dwordx4 a[80:83], v56, s[92:95], 0 offen       // 000000006C1C: E05C1000 80975038
	v_mfma_scale_f32_16x16x128_f8f6f4 v[112:115], a[16:19], v[200:203], v[112:115], v27, v23 op_sel_hi:[0,0,0] cbsz:4 blgp:4// 000000006C24: D3AC7000 00022F1B D3AD0C70 8DC39110
	v_mfma_scale_f32_16x16x128_f8f6f4 v[84:87], a[20:23], v[192:195], v[84:87], v27, v23 op_sel_hi:[0,0,0] cbsz:4 blgp:4// 000000006C34: D3AC6800 00022F1B D3AD0C54 8D538114
	buffer_load_dwordx4 a[84:87], v57, s[92:95], 0 offen       // 000000006C44: E05C1000 80975439
	v_mfma_scale_f32_16x16x128_f8f6f4 v[116:119], a[20:23], v[200:203], v[116:119], v27, v23 op_sel_hi:[0,0,0] cbsz:4 blgp:4// 000000006C4C: D3AC7800 00022F1B D3AD0C74 8DD39114
	s_waitcnt vmcnt(20)                                        // 000000006C5C: BF8C4F74
	v_mfma_scale_f32_16x16x128_f8f6f4 v[88:91], a[24:27], v[192:195], v[88:91], v28, v23 op_sel_hi:[0,0,0] cbsz:4 blgp:4// 000000006C60: D3AC6000 00022F1C D3AD0C58 8D638118
	buffer_load_dwordx4 a[88:91], v58, s[92:95], 0 offen       // 000000006C70: E05C1000 8097583A
	v_mfma_scale_f32_16x16x128_f8f6f4 v[120:123], a[24:27], v[200:203], v[120:123], v28, v23 op_sel_hi:[0,0,0] cbsz:4 blgp:4// 000000006C78: D3AC7000 00022F1C D3AD0C78 8DE39118
	v_mfma_scale_f32_16x16x128_f8f6f4 v[92:95], a[28:31], v[192:195], v[92:95], v28, v23 op_sel_hi:[0,0,0] cbsz:4 blgp:4// 000000006C88: D3AC6800 00022F1C D3AD0C5C 8D73811C
	buffer_load_dwordx4 a[92:95], v59, s[92:95], 0 offen       // 000000006C98: E05C1000 80975C3B
	v_mfma_scale_f32_16x16x128_f8f6f4 v[124:127], a[28:31], v[200:203], v[124:127], v28, v23 op_sel_hi:[0,0,0] cbsz:4 blgp:4// 000000006CA0: D3AC7800 00022F1C D3AD0C7C 8DF3911C
	s_nop 0                                                    // 000000006CB0: BF800000
	s_waitcnt vmcnt(20)                                        // 000000006CB4: BF8C4F74
	v_mfma_scale_f32_16x16x128_f8f6f4 v[64:67], a[32:35], v[196:199], v[64:67], v25, v23 op_sel_hi:[0,0,0] cbsz:4 blgp:4// 000000006CB8: D3AC6000 18022F19 D3AD0C40 8D038920
	buffer_load_dwordx4 a[96:99], v52, s[92:95], 0 offen offset:1024// 000000006CC8: E05C1400 80976034
	v_mfma_scale_f32_16x16x128_f8f6f4 v[96:99], a[32:35], v[204:207], v[96:99], v25, v23 op_sel_hi:[0,0,0] cbsz:4 blgp:4// 000000006CD0: D3AC7000 18022F19 D3AD0C60 8D839920
	v_mfma_scale_f32_16x16x128_f8f6f4 v[68:71], a[36:39], v[196:199], v[68:71], v25, v23 op_sel_hi:[0,0,0] cbsz:4 blgp:4// 000000006CE0: D3AC6800 18022F19 D3AD0C44 8D138924
	buffer_load_dwordx4 a[100:103], v53, s[92:95], 0 offen offset:1024// 000000006CF0: E05C1400 80976435
	v_mfma_scale_f32_16x16x128_f8f6f4 v[100:103], a[36:39], v[204:207], v[100:103], v25, v23 op_sel_hi:[0,0,0] cbsz:4 blgp:4// 000000006CF8: D3AC7800 18022F19 D3AD0C64 8D939924
	s_waitcnt vmcnt(20)                                        // 000000006D08: BF8C4F74
	v_mfma_scale_f32_16x16x128_f8f6f4 v[72:75], a[40:43], v[196:199], v[72:75], v26, v23 op_sel_hi:[0,0,0] cbsz:4 blgp:4// 000000006D0C: D3AC6000 18022F1A D3AD0C48 8D238928
	buffer_load_dwordx4 a[104:107], v54, s[92:95], 0 offen offset:1024// 000000006D1C: E05C1400 80976836
	v_mfma_scale_f32_16x16x128_f8f6f4 v[104:107], a[40:43], v[204:207], v[104:107], v26, v23 op_sel_hi:[0,0,0] cbsz:4 blgp:4// 000000006D24: D3AC7000 18022F1A D3AD0C68 8DA39928
	v_mfma_scale_f32_16x16x128_f8f6f4 v[76:79], a[44:47], v[196:199], v[76:79], v26, v23 op_sel_hi:[0,0,0] cbsz:4 blgp:4// 000000006D34: D3AC6800 18022F1A D3AD0C4C 8D33892C
	buffer_load_dwordx4 a[108:111], v55, s[92:95], 0 offen offset:1024// 000000006D44: E05C1400 80976C37
	v_mfma_scale_f32_16x16x128_f8f6f4 v[108:111], a[44:47], v[204:207], v[108:111], v26, v23 op_sel_hi:[0,0,0] cbsz:4 blgp:4// 000000006D4C: D3AC7800 18022F1A D3AD0C6C 8DB3992C
	s_waitcnt vmcnt(20)                                        // 000000006D5C: BF8C4F74
	v_mfma_scale_f32_16x16x128_f8f6f4 v[80:83], a[48:51], v[196:199], v[80:83], v27, v23 op_sel_hi:[0,0,0] cbsz:4 blgp:4// 000000006D60: D3AC6000 18022F1B D3AD0C50 8D438930
	buffer_load_dwordx4 a[112:115], v56, s[92:95], 0 offen offset:1024// 000000006D70: E05C1400 80977038
	v_mfma_scale_f32_16x16x128_f8f6f4 v[112:115], a[48:51], v[204:207], v[112:115], v27, v23 op_sel_hi:[0,0,0] cbsz:4 blgp:4// 000000006D78: D3AC7000 18022F1B D3AD0C70 8DC39930
	v_mfma_scale_f32_16x16x128_f8f6f4 v[84:87], a[52:55], v[196:199], v[84:87], v27, v23 op_sel_hi:[0,0,0] cbsz:4 blgp:4// 000000006D88: D3AC6800 18022F1B D3AD0C54 8D538934
	buffer_load_dwordx4 a[116:119], v57, s[92:95], 0 offen offset:1024// 000000006D98: E05C1400 80977439
	v_mfma_scale_f32_16x16x128_f8f6f4 v[116:119], a[52:55], v[204:207], v[116:119], v27, v23 op_sel_hi:[0,0,0] cbsz:4 blgp:4// 000000006DA0: D3AC7800 18022F1B D3AD0C74 8DD39934
	s_waitcnt vmcnt(20)                                        // 000000006DB0: BF8C4F74
	v_mfma_scale_f32_16x16x128_f8f6f4 v[88:91], a[56:59], v[196:199], v[88:91], v28, v23 op_sel_hi:[0,0,0] cbsz:4 blgp:4// 000000006DB4: D3AC6000 18022F1C D3AD0C58 8D638938
	buffer_load_dwordx4 a[120:123], v58, s[92:95], 0 offen offset:1024// 000000006DC4: E05C1400 8097783A
	v_mfma_scale_f32_16x16x128_f8f6f4 v[120:123], a[56:59], v[204:207], v[120:123], v28, v23 op_sel_hi:[0,0,0] cbsz:4 blgp:4// 000000006DCC: D3AC7000 18022F1C D3AD0C78 8DE39938
	v_mfma_scale_f32_16x16x128_f8f6f4 v[92:95], a[60:63], v[196:199], v[92:95], v28, v23 op_sel_hi:[0,0,0] cbsz:4 blgp:4// 000000006DDC: D3AC6800 18022F1C D3AD0C5C 8D73893C
	buffer_load_dwordx4 a[124:127], v59, s[92:95], 0 offen offset:1024// 000000006DEC: E05C1400 80977C3B
	v_mfma_scale_f32_16x16x128_f8f6f4 v[124:127], a[60:63], v[204:207], v[124:127], v28, v23 op_sel_hi:[0,0,0] cbsz:4 blgp:4// 000000006DF4: D3AC7800 18022F1C D3AD0C7C 8DF3993C
	s_add_u32 s60, 0x100, s80                                  // 000000006E04: 803C50FF 00000100
	s_cmp_lt_u32 s60, s81                                      // 000000006E0C: BF0A513C
	s_cselect_b32 s4, s4, 0                                    // 000000006E10: 85048004
	s_add_u32 s32, s4, s32                                     // 000000006E14: 80202004
	s_addc_u32 s33, 0, s33                                     // 000000006E18: 82212180
	s_waitcnt vmcnt(14)                                        // 000000006E1C: BF8C0F7E
	s_barrier                                                  // 000000006E20: BF8A0000
	v_mfma_scale_f32_16x16x128_f8f6f4 v[128:131], a[64:67], v[192:195], v[128:131], v33, v23 op_sel_hi:[0,0,0] cbsz:4 blgp:4// 000000006E24: D3AC0000 00022F21 D3AD0C80 8E038140
	buffer_load_dwordx4 a[0:3], v52, s[24:27], 0 offen         // 000000006E34: E05C1000 80860034
	buffer_load_dword v29, v15, s[32:35], 0 offen              // 000000006E3C: E0501000 80081D0F
	buffer_load_dword v30, v16, s[32:35], 0 offen              // 000000006E44: E0501000 80081E10
	v_mfma_scale_f32_16x16x128_f8f6f4 v[160:163], a[64:67], v[200:203], v[160:163], v33, v23 op_sel_hi:[0,0,0] cbsz:4 blgp:4// 000000006E4C: D3AC7000 00022F21 D3AD0CA0 8E839140
	v_mfma_scale_f32_16x16x128_f8f6f4 v[132:135], a[68:71], v[192:195], v[132:135], v33, v23 op_sel_hi:[0,0,0] cbsz:4 blgp:4// 000000006E5C: D3AC6800 00022F21 D3AD0C84 8E138144
	buffer_load_dwordx4 a[4:7], v53, s[24:27], 0 offen         // 000000006E6C: E05C1000 80860435
	buffer_load_dword v31, v17, s[32:35], 0 offen              // 000000006E74: E0501000 80081F11
	buffer_load_dword v32, v18, s[32:35], 0 offen              // 000000006E7C: E0501000 80082012
	v_mfma_scale_f32_16x16x128_f8f6f4 v[164:167], a[68:71], v[200:203], v[164:167], v33, v23 op_sel_hi:[0,0,0] cbsz:4 blgp:4// 000000006E84: D3AC7800 00022F21 D3AD0CA4 8E939144
	s_waitcnt vmcnt(18)                                        // 000000006E94: BF8C4F72
	v_mfma_scale_f32_16x16x128_f8f6f4 v[136:139], a[72:75], v[192:195], v[136:139], v34, v23 op_sel_hi:[0,0,0] cbsz:4 blgp:4// 000000006E98: D3AC6000 00022F22 D3AD0C88 8E238148
	buffer_load_dwordx4 a[8:11], v54, s[24:27], 0 offen        // 000000006EA8: E05C1000 80860836
	v_mfma_scale_f32_16x16x128_f8f6f4 v[168:171], a[72:75], v[200:203], v[168:171], v34, v23 op_sel_hi:[0,0,0] cbsz:4 blgp:4// 000000006EB0: D3AC7000 00022F22 D3AD0CA8 8EA39148
	v_mfma_scale_f32_16x16x128_f8f6f4 v[140:143], a[76:79], v[192:195], v[140:143], v34, v23 op_sel_hi:[0,0,0] cbsz:4 blgp:4// 000000006EC0: D3AC6800 00022F22 D3AD0C8C 8E33814C
	buffer_load_dwordx4 a[12:15], v55, s[24:27], 0 offen       // 000000006ED0: E05C1000 80860C37
	v_mfma_scale_f32_16x16x128_f8f6f4 v[172:175], a[76:79], v[200:203], v[172:175], v34, v23 op_sel_hi:[0,0,0] cbsz:4 blgp:4// 000000006ED8: D3AC7800 00022F22 D3AD0CAC 8EB3914C
	s_waitcnt vmcnt(18)                                        // 000000006EE8: BF8C4F72
	v_mfma_scale_f32_16x16x128_f8f6f4 v[144:147], a[80:83], v[192:195], v[144:147], v35, v23 op_sel_hi:[0,0,0] cbsz:4 blgp:4// 000000006EEC: D3AC6000 00022F23 D3AD0C90 8E438150
	buffer_load_dwordx4 a[16:19], v56, s[24:27], 0 offen       // 000000006EFC: E05C1000 80861038
	v_mfma_scale_f32_16x16x128_f8f6f4 v[176:179], a[80:83], v[200:203], v[176:179], v35, v23 op_sel_hi:[0,0,0] cbsz:4 blgp:4// 000000006F04: D3AC7000 00022F23 D3AD0CB0 8EC39150
	v_mfma_scale_f32_16x16x128_f8f6f4 v[148:151], a[84:87], v[192:195], v[148:151], v35, v23 op_sel_hi:[0,0,0] cbsz:4 blgp:4// 000000006F14: D3AC6800 00022F23 D3AD0C94 8E538154
	buffer_load_dwordx4 a[20:23], v57, s[24:27], 0 offen       // 000000006F24: E05C1000 80861439
	v_mfma_scale_f32_16x16x128_f8f6f4 v[180:183], a[84:87], v[200:203], v[180:183], v35, v23 op_sel_hi:[0,0,0] cbsz:4 blgp:4// 000000006F2C: D3AC7800 00022F23 D3AD0CB4 8ED39154
	s_waitcnt vmcnt(18)                                        // 000000006F3C: BF8C4F72
	v_mfma_scale_f32_16x16x128_f8f6f4 v[152:155], a[88:91], v[192:195], v[152:155], v36, v23 op_sel_hi:[0,0,0] cbsz:4 blgp:4// 000000006F40: D3AC6000 00022F24 D3AD0C98 8E638158
	buffer_load_dwordx4 a[24:27], v58, s[24:27], 0 offen       // 000000006F50: E05C1000 8086183A
	v_mfma_scale_f32_16x16x128_f8f6f4 v[184:187], a[88:91], v[200:203], v[184:187], v36, v23 op_sel_hi:[0,0,0] cbsz:4 blgp:4// 000000006F58: D3AC7000 00022F24 D3AD0CB8 8EE39158
	v_mfma_scale_f32_16x16x128_f8f6f4 v[156:159], a[92:95], v[192:195], v[156:159], v36, v23 op_sel_hi:[0,0,0] cbsz:4 blgp:4// 000000006F68: D3AC6800 00022F24 D3AD0C9C 8E73815C
	buffer_load_dwordx4 a[28:31], v59, s[24:27], 0 offen       // 000000006F78: E05C1000 80861C3B
	v_mfma_scale_f32_16x16x128_f8f6f4 v[188:191], a[92:95], v[200:203], v[188:191], v36, v23 op_sel_hi:[0,0,0] cbsz:4 blgp:4// 000000006F80: D3AC7800 00022F24 D3AD0CBC 8EF3915C
	s_waitcnt vmcnt(18)                                        // 000000006F90: BF8C4F72
	v_mfma_scale_f32_16x16x128_f8f6f4 v[128:131], a[96:99], v[196:199], v[128:131], v33, v23 op_sel_hi:[0,0,0] cbsz:4 blgp:4// 000000006F94: D3AC6000 18022F21 D3AD0C80 8E038960
	buffer_load_dwordx4 a[32:35], v52, s[24:27], 0 offen offset:1024// 000000006FA4: E05C1400 80862034
	v_mfma_scale_f32_16x16x128_f8f6f4 v[160:163], a[96:99], v[204:207], v[160:163], v33, v23 op_sel_hi:[0,0,0] cbsz:4 blgp:4// 000000006FAC: D3AC7000 18022F21 D3AD0CA0 8E839960
	ds_read_b128 v[208:211], v6 offset:4224                    // 000000006FBC: D9FE1080 D0000006
	ds_read_b128 v[212:215], v6 offset:4288                    // 000000006FC4: D9FE10C0 D4000006
	v_mfma_scale_f32_16x16x128_f8f6f4 v[132:135], a[100:103], v[196:199], v[132:135], v33, v23 op_sel_hi:[0,0,0] cbsz:4 blgp:4// 000000006FCC: D3AC6800 18022F21 D3AD0C84 8E138964
	buffer_load_dwordx4 a[36:39], v53, s[24:27], 0 offen offset:1024// 000000006FDC: E05C1400 80862435
	v_mfma_scale_f32_16x16x128_f8f6f4 v[164:167], a[100:103], v[204:207], v[164:167], v33, v23 op_sel_hi:[0,0,0] cbsz:4 blgp:4// 000000006FE4: D3AC7800 18022F21 D3AD0CA4 8E939964
	ds_read_b128 v[216:219], v6 offset:4736                    // 000000006FF4: D9FE1280 D8000006
	ds_read_b128 v[220:223], v6 offset:4800                    // 000000006FFC: D9FE12C0 DC000006
	s_waitcnt vmcnt(18)                                        // 000000007004: BF8C4F72
	v_mfma_scale_f32_16x16x128_f8f6f4 v[136:139], a[104:107], v[196:199], v[136:139], v34, v23 op_sel_hi:[0,0,0] cbsz:4 blgp:4// 000000007008: D3AC6000 18022F22 D3AD0C88 8E238968
	buffer_load_dwordx4 a[40:43], v54, s[24:27], 0 offen offset:1024// 000000007018: E05C1400 80862836
	v_mfma_scale_f32_16x16x128_f8f6f4 v[168:171], a[104:107], v[204:207], v[168:171], v34, v23 op_sel_hi:[0,0,0] cbsz:4 blgp:4// 000000007020: D3AC7000 18022F22 D3AD0CA8 8EA39968
	v_mfma_scale_f32_16x16x128_f8f6f4 v[140:143], a[108:111], v[196:199], v[140:143], v34, v23 op_sel_hi:[0,0,0] cbsz:4 blgp:4// 000000007030: D3AC6800 18022F22 D3AD0C8C 8E33896C
	buffer_load_dwordx4 a[44:47], v55, s[24:27], 0 offen offset:1024// 000000007040: E05C1400 80862C37
	v_mfma_scale_f32_16x16x128_f8f6f4 v[172:175], a[108:111], v[204:207], v[172:175], v34, v23 op_sel_hi:[0,0,0] cbsz:4 blgp:4// 000000007048: D3AC7800 18022F22 D3AD0CAC 8EB3996C
	s_waitcnt vmcnt(18)                                        // 000000007058: BF8C4F72
	v_mfma_scale_f32_16x16x128_f8f6f4 v[144:147], a[112:115], v[196:199], v[144:147], v35, v23 op_sel_hi:[0,0,0] cbsz:4 blgp:4// 00000000705C: D3AC6000 18022F23 D3AD0C90 8E438970
	buffer_load_dwordx4 a[48:51], v56, s[24:27], 0 offen offset:1024// 00000000706C: E05C1400 80863038
	v_mfma_scale_f32_16x16x128_f8f6f4 v[176:179], a[112:115], v[204:207], v[176:179], v35, v23 op_sel_hi:[0,0,0] cbsz:4 blgp:4// 000000007074: D3AC7000 18022F23 D3AD0CB0 8EC39970
	v_mfma_scale_f32_16x16x128_f8f6f4 v[148:151], a[116:119], v[196:199], v[148:151], v35, v23 op_sel_hi:[0,0,0] cbsz:4 blgp:4// 000000007084: D3AC6800 18022F23 D3AD0C94 8E538974
	buffer_load_dwordx4 a[52:55], v57, s[24:27], 0 offen offset:1024// 000000007094: E05C1400 80863439
	v_mfma_scale_f32_16x16x128_f8f6f4 v[180:183], a[116:119], v[204:207], v[180:183], v35, v23 op_sel_hi:[0,0,0] cbsz:4 blgp:4// 00000000709C: D3AC7800 18022F23 D3AD0CB4 8ED39974
	s_waitcnt vmcnt(18)                                        // 0000000070AC: BF8C4F72
	v_mfma_scale_f32_16x16x128_f8f6f4 v[152:155], a[120:123], v[196:199], v[152:155], v36, v23 op_sel_hi:[0,0,0] cbsz:4 blgp:4// 0000000070B0: D3AC6000 18022F24 D3AD0C98 8E638978
	buffer_load_dwordx4 a[56:59], v58, s[24:27], 0 offen offset:1024// 0000000070C0: E05C1400 8086383A
	v_mfma_scale_f32_16x16x128_f8f6f4 v[184:187], a[120:123], v[204:207], v[184:187], v36, v23 op_sel_hi:[0,0,0] cbsz:4 blgp:4// 0000000070C8: D3AC7000 18022F24 D3AD0CB8 8EE39978
	v_mfma_scale_f32_16x16x128_f8f6f4 v[156:159], a[124:127], v[196:199], v[156:159], v36, v23 op_sel_hi:[0,0,0] cbsz:4 blgp:4// 0000000070D8: D3AC6800 18022F24 D3AD0C9C 8E73897C
	buffer_load_dwordx4 a[60:63], v59, s[24:27], 0 offen offset:1024// 0000000070E8: E05C1400 80863C3B
	v_mfma_scale_f32_16x16x128_f8f6f4 v[188:191], a[124:127], v[204:207], v[188:191], v36, v23 op_sel_hi:[0,0,0] cbsz:4 blgp:4// 0000000070F0: D3AC7800 18022F24 D3AD0CBC 8EF3997C
	s_add_u32 s60, 0x200, s80                                  // 000000007100: 803C50FF 00000200
	s_cmp_lt_u32 s60, s81                                      // 000000007108: BF0A513C
	s_cselect_b32 s57, s57, 0                                  // 00000000710C: 85398039
	s_cselect_b32 s3, s3, 0                                    // 000000007110: 85038003
	s_add_u32 s60, 0x200, s80                                  // 000000007114: 803C50FF 00000200
	s_cmp_lt_u32 s60, s81                                      // 00000000711C: BF0A513C
	s_cselect_b32 s58, s58, 0                                  // 000000007120: 853A803A
	s_add_u32 s20, s57, s20                                    // 000000007124: 80141439
	s_addc_u32 s21, 0, s21                                     // 000000007128: 82151580
	s_add_u32 s28, s3, s28                                     // 00000000712C: 801C1C03
	s_addc_u32 s29, 0, s29                                     // 000000007130: 821D1D80
	s_add_u32 s24, s58, s24                                    // 000000007134: 8018183A
	s_addc_u32 s25, 0, s25                                     // 000000007138: 82191980
	s_add_u32 s92, s90, s92                                    // 00000000713C: 805C5C5A
	s_addc_u32 s93, 0, s93                                     // 000000007140: 825D5D80
	s_addk_i32 s80, 0x100                                      // 000000007144: B7500100
	s_cmp_lt_i32 s80, s81                                      // 000000007148: BF045150
	s_cbranch_scc0 label_125F                                  // 00000000714C: BF84018B
	s_waitcnt vmcnt(14) lgkmcnt(0)                             // 000000007150: BF8C007E
	s_barrier                                                  // 000000007154: BF8A0000
	v_mfma_scale_f32_16x16x128_f8f6f4 v[64:67], a[0:3], v[208:211], v[64:67], v29, v24 op_sel_hi:[0,0,0] cbsz:4 blgp:4// 000000007158: D3AC6000 0002311D D3AD0C40 8D03A100
	buffer_load_dwordx4 a[64:67], v52, s[92:95], 0 offen       // 000000007168: E05C1000 80974034
	buffer_load_dwordx4 v51, s[20:23], 0 offen lds             // 000000007170: E05D1000 80050033
	s_add_u32 m0, 0, s51                                       // 000000007178: 807C3380
	v_mfma_scale_f32_16x16x128_f8f6f4 v[96:99], a[0:3], v[216:219], v[96:99], v29, v24 op_sel_hi:[0,0,0] cbsz:4 blgp:4// 00000000717C: D3AC7000 0002311D D3AD0C60 8D83B100
	v_mfma_scale_f32_16x16x128_f8f6f4 v[68:71], a[4:7], v[208:211], v[68:71], v29, v24 op_sel_hi:[0,0,0] cbsz:4 blgp:4// 00000000718C: D3AC6800 0002311D D3AD0C44 8D13A104
	buffer_load_dwordx4 a[68:71], v53, s[92:95], 0 offen       // 00000000719C: E05C1000 80974435
	buffer_load_dword v23, v12, s[28:31], 0 offen              // 0000000071A4: E0501000 8007170C
	buffer_load_dword v37, v19, s[32:35], 0 offen              // 0000000071AC: E0501000 80082513
	buffer_load_dword v38, v20, s[32:35], 0 offen              // 0000000071B4: E0501000 80082614
	buffer_load_dword v39, v21, s[32:35], 0 offen              // 0000000071BC: E0501000 80082715
	buffer_load_dword v40, v22, s[32:35], 0 offen              // 0000000071C4: E0501000 80082816
	v_mfma_scale_f32_16x16x128_f8f6f4 v[100:103], a[4:7], v[216:219], v[100:103], v29, v24 op_sel_hi:[0,0,0] cbsz:4 blgp:4// 0000000071CC: D3AC7800 0002311D D3AD0C64 8D93B104
	s_waitcnt vmcnt(20)                                        // 0000000071DC: BF8C4F74
	v_mfma_scale_f32_16x16x128_f8f6f4 v[72:75], a[8:11], v[208:211], v[72:75], v30, v24 op_sel_hi:[0,0,0] cbsz:4 blgp:4// 0000000071E0: D3AC6000 0002311E D3AD0C48 8D23A108
	buffer_load_dwordx4 a[72:75], v54, s[92:95], 0 offen       // 0000000071F0: E05C1000 80974836
	v_mfma_scale_f32_16x16x128_f8f6f4 v[104:107], a[8:11], v[216:219], v[104:107], v30, v24 op_sel_hi:[0,0,0] cbsz:4 blgp:4// 0000000071F8: D3AC7000 0002311E D3AD0C68 8DA3B108
	v_mfma_scale_f32_16x16x128_f8f6f4 v[76:79], a[12:15], v[208:211], v[76:79], v30, v24 op_sel_hi:[0,0,0] cbsz:4 blgp:4// 000000007208: D3AC6800 0002311E D3AD0C4C 8D33A10C
	buffer_load_dwordx4 a[76:79], v55, s[92:95], 0 offen       // 000000007218: E05C1000 80974C37
	v_mfma_scale_f32_16x16x128_f8f6f4 v[108:111], a[12:15], v[216:219], v[108:111], v30, v24 op_sel_hi:[0,0,0] cbsz:4 blgp:4// 000000007220: D3AC7800 0002311E D3AD0C6C 8DB3B10C
	s_waitcnt vmcnt(20)                                        // 000000007230: BF8C4F74
	v_mfma_scale_f32_16x16x128_f8f6f4 v[80:83], a[16:19], v[208:211], v[80:83], v31, v24 op_sel_hi:[0,0,0] cbsz:4 blgp:4// 000000007234: D3AC6000 0002311F D3AD0C50 8D43A110
	buffer_load_dwordx4 a[80:83], v56, s[92:95], 0 offen       // 000000007244: E05C1000 80975038
	v_mfma_scale_f32_16x16x128_f8f6f4 v[112:115], a[16:19], v[216:219], v[112:115], v31, v24 op_sel_hi:[0,0,0] cbsz:4 blgp:4// 00000000724C: D3AC7000 0002311F D3AD0C70 8DC3B110
	v_mfma_scale_f32_16x16x128_f8f6f4 v[84:87], a[20:23], v[208:211], v[84:87], v31, v24 op_sel_hi:[0,0,0] cbsz:4 blgp:4// 00000000725C: D3AC6800 0002311F D3AD0C54 8D53A114
	buffer_load_dwordx4 a[84:87], v57, s[92:95], 0 offen       // 00000000726C: E05C1000 80975439
	v_mfma_scale_f32_16x16x128_f8f6f4 v[116:119], a[20:23], v[216:219], v[116:119], v31, v24 op_sel_hi:[0,0,0] cbsz:4 blgp:4// 000000007274: D3AC7800 0002311F D3AD0C74 8DD3B114
	s_waitcnt vmcnt(20)                                        // 000000007284: BF8C4F74
	v_mfma_scale_f32_16x16x128_f8f6f4 v[88:91], a[24:27], v[208:211], v[88:91], v32, v24 op_sel_hi:[0,0,0] cbsz:4 blgp:4// 000000007288: D3AC6000 00023120 D3AD0C58 8D63A118
	buffer_load_dwordx4 a[88:91], v58, s[92:95], 0 offen       // 000000007298: E05C1000 8097583A
	v_mfma_scale_f32_16x16x128_f8f6f4 v[120:123], a[24:27], v[216:219], v[120:123], v32, v24 op_sel_hi:[0,0,0] cbsz:4 blgp:4// 0000000072A0: D3AC7000 00023120 D3AD0C78 8DE3B118
	v_mfma_scale_f32_16x16x128_f8f6f4 v[92:95], a[28:31], v[208:211], v[92:95], v32, v24 op_sel_hi:[0,0,0] cbsz:4 blgp:4// 0000000072B0: D3AC6800 00023120 D3AD0C5C 8D73A11C
	buffer_load_dwordx4 a[92:95], v59, s[92:95], 0 offen       // 0000000072C0: E05C1000 80975C3B
	v_mfma_scale_f32_16x16x128_f8f6f4 v[124:127], a[28:31], v[216:219], v[124:127], v32, v24 op_sel_hi:[0,0,0] cbsz:4 blgp:4// 0000000072C8: D3AC7800 00023120 D3AD0C7C 8DF3B11C
	s_nop 0                                                    // 0000000072D8: BF800000
	s_waitcnt vmcnt(20)                                        // 0000000072DC: BF8C4F74
	v_mfma_scale_f32_16x16x128_f8f6f4 v[64:67], a[32:35], v[212:215], v[64:67], v29, v24 op_sel_hi:[0,0,0] cbsz:4 blgp:4// 0000000072E0: D3AC6000 1802311D D3AD0C40 8D03A920
	buffer_load_dwordx4 a[96:99], v52, s[92:95], 0 offen offset:1024// 0000000072F0: E05C1400 80976034
	v_mfma_scale_f32_16x16x128_f8f6f4 v[96:99], a[32:35], v[220:223], v[96:99], v29, v24 op_sel_hi:[0,0,0] cbsz:4 blgp:4// 0000000072F8: D3AC7000 1802311D D3AD0C60 8D83B920
	v_mfma_scale_f32_16x16x128_f8f6f4 v[68:71], a[36:39], v[212:215], v[68:71], v29, v24 op_sel_hi:[0,0,0] cbsz:4 blgp:4// 000000007308: D3AC6800 1802311D D3AD0C44 8D13A924
	buffer_load_dwordx4 a[100:103], v53, s[92:95], 0 offen offset:1024// 000000007318: E05C1400 80976435
	v_mfma_scale_f32_16x16x128_f8f6f4 v[100:103], a[36:39], v[220:223], v[100:103], v29, v24 op_sel_hi:[0,0,0] cbsz:4 blgp:4// 000000007320: D3AC7800 1802311D D3AD0C64 8D93B924
	s_waitcnt vmcnt(20)                                        // 000000007330: BF8C4F74
	v_mfma_scale_f32_16x16x128_f8f6f4 v[72:75], a[40:43], v[212:215], v[72:75], v30, v24 op_sel_hi:[0,0,0] cbsz:4 blgp:4// 000000007334: D3AC6000 1802311E D3AD0C48 8D23A928
	buffer_load_dwordx4 a[104:107], v54, s[92:95], 0 offen offset:1024// 000000007344: E05C1400 80976836
	v_mfma_scale_f32_16x16x128_f8f6f4 v[104:107], a[40:43], v[220:223], v[104:107], v30, v24 op_sel_hi:[0,0,0] cbsz:4 blgp:4// 00000000734C: D3AC7000 1802311E D3AD0C68 8DA3B928
	v_mfma_scale_f32_16x16x128_f8f6f4 v[76:79], a[44:47], v[212:215], v[76:79], v30, v24 op_sel_hi:[0,0,0] cbsz:4 blgp:4// 00000000735C: D3AC6800 1802311E D3AD0C4C 8D33A92C
	buffer_load_dwordx4 a[108:111], v55, s[92:95], 0 offen offset:1024// 00000000736C: E05C1400 80976C37
	v_mfma_scale_f32_16x16x128_f8f6f4 v[108:111], a[44:47], v[220:223], v[108:111], v30, v24 op_sel_hi:[0,0,0] cbsz:4 blgp:4// 000000007374: D3AC7800 1802311E D3AD0C6C 8DB3B92C
	s_waitcnt vmcnt(20)                                        // 000000007384: BF8C4F74
	v_mfma_scale_f32_16x16x128_f8f6f4 v[80:83], a[48:51], v[212:215], v[80:83], v31, v24 op_sel_hi:[0,0,0] cbsz:4 blgp:4// 000000007388: D3AC6000 1802311F D3AD0C50 8D43A930
	buffer_load_dwordx4 a[112:115], v56, s[92:95], 0 offen offset:1024// 000000007398: E05C1400 80977038
	v_mfma_scale_f32_16x16x128_f8f6f4 v[112:115], a[48:51], v[220:223], v[112:115], v31, v24 op_sel_hi:[0,0,0] cbsz:4 blgp:4// 0000000073A0: D3AC7000 1802311F D3AD0C70 8DC3B930
	v_mfma_scale_f32_16x16x128_f8f6f4 v[84:87], a[52:55], v[212:215], v[84:87], v31, v24 op_sel_hi:[0,0,0] cbsz:4 blgp:4// 0000000073B0: D3AC6800 1802311F D3AD0C54 8D53A934
	buffer_load_dwordx4 a[116:119], v57, s[92:95], 0 offen offset:1024// 0000000073C0: E05C1400 80977439
	v_mfma_scale_f32_16x16x128_f8f6f4 v[116:119], a[52:55], v[220:223], v[116:119], v31, v24 op_sel_hi:[0,0,0] cbsz:4 blgp:4// 0000000073C8: D3AC7800 1802311F D3AD0C74 8DD3B934
	s_waitcnt vmcnt(20)                                        // 0000000073D8: BF8C4F74
	v_mfma_scale_f32_16x16x128_f8f6f4 v[88:91], a[56:59], v[212:215], v[88:91], v32, v24 op_sel_hi:[0,0,0] cbsz:4 blgp:4// 0000000073DC: D3AC6000 18023120 D3AD0C58 8D63A938
	buffer_load_dwordx4 a[120:123], v58, s[92:95], 0 offen offset:1024// 0000000073EC: E05C1400 8097783A
	v_mfma_scale_f32_16x16x128_f8f6f4 v[120:123], a[56:59], v[220:223], v[120:123], v32, v24 op_sel_hi:[0,0,0] cbsz:4 blgp:4// 0000000073F4: D3AC7000 18023120 D3AD0C78 8DE3B938
	v_mfma_scale_f32_16x16x128_f8f6f4 v[92:95], a[60:63], v[212:215], v[92:95], v32, v24 op_sel_hi:[0,0,0] cbsz:4 blgp:4// 000000007404: D3AC6800 18023120 D3AD0C5C 8D73A93C
	buffer_load_dwordx4 a[124:127], v59, s[92:95], 0 offen offset:1024// 000000007414: E05C1400 80977C3B
	v_mfma_scale_f32_16x16x128_f8f6f4 v[124:127], a[60:63], v[220:223], v[124:127], v32, v24 op_sel_hi:[0,0,0] cbsz:4 blgp:4// 00000000741C: D3AC7800 18023120 D3AD0C7C 8DF3B93C
	s_add_u32 s60, 0x100, s80                                  // 00000000742C: 803C50FF 00000100
	s_cmp_lt_u32 s60, s81                                      // 000000007434: BF0A513C
	s_cselect_b32 s4, s4, 0                                    // 000000007438: 85048004
	s_add_u32 s32, s4, s32                                     // 00000000743C: 80202004
	s_addc_u32 s33, 0, s33                                     // 000000007440: 82212180
	s_waitcnt vmcnt(14)                                        // 000000007444: BF8C0F7E
	s_barrier                                                  // 000000007448: BF8A0000
	v_mfma_scale_f32_16x16x128_f8f6f4 v[128:131], a[64:67], v[208:211], v[128:131], v37, v24 op_sel_hi:[0,0,0] cbsz:4 blgp:4// 00000000744C: D3AC6000 00023125 D3AD0C80 8E03A140
	buffer_load_dwordx4 a[0:3], v52, s[24:27], 0 offen         // 00000000745C: E05C1000 80860034
	buffer_load_dword v25, v15, s[32:35], 0 offen              // 000000007464: E0501000 8008190F
	buffer_load_dword v26, v16, s[32:35], 0 offen              // 00000000746C: E0501000 80081A10
	v_mfma_scale_f32_16x16x128_f8f6f4 v[160:163], a[64:67], v[216:219], v[160:163], v37, v24 op_sel_hi:[0,0,0] cbsz:4 blgp:4// 000000007474: D3AC7000 00023125 D3AD0CA0 8E83B140
	v_mfma_scale_f32_16x16x128_f8f6f4 v[132:135], a[68:71], v[208:211], v[132:135], v37, v24 op_sel_hi:[0,0,0] cbsz:4 blgp:4// 000000007484: D3AC6800 00023125 D3AD0C84 8E13A144
	buffer_load_dwordx4 a[4:7], v53, s[24:27], 0 offen         // 000000007494: E05C1000 80860435
	buffer_load_dword v27, v17, s[32:35], 0 offen              // 00000000749C: E0501000 80081B11
	buffer_load_dword v28, v18, s[32:35], 0 offen              // 0000000074A4: E0501000 80081C12
	v_mfma_scale_f32_16x16x128_f8f6f4 v[164:167], a[68:71], v[216:219], v[164:167], v37, v24 op_sel_hi:[0,0,0] cbsz:4 blgp:4// 0000000074AC: D3AC7800 00023125 D3AD0CA4 8E93B144
	s_waitcnt vmcnt(18)                                        // 0000000074BC: BF8C4F72
	v_mfma_scale_f32_16x16x128_f8f6f4 v[136:139], a[72:75], v[208:211], v[136:139], v38, v24 op_sel_hi:[0,0,0] cbsz:4 blgp:4// 0000000074C0: D3AC6000 00023126 D3AD0C88 8E23A148
	buffer_load_dwordx4 a[8:11], v54, s[24:27], 0 offen        // 0000000074D0: E05C1000 80860836
	v_mfma_scale_f32_16x16x128_f8f6f4 v[168:171], a[72:75], v[216:219], v[168:171], v38, v24 op_sel_hi:[0,0,0] cbsz:4 blgp:4// 0000000074D8: D3AC7000 00023126 D3AD0CA8 8EA3B148
	v_mfma_scale_f32_16x16x128_f8f6f4 v[140:143], a[76:79], v[208:211], v[140:143], v38, v24 op_sel_hi:[0,0,0] cbsz:4 blgp:4// 0000000074E8: D3AC6800 00023126 D3AD0C8C 8E33A14C
	buffer_load_dwordx4 a[12:15], v55, s[24:27], 0 offen       // 0000000074F8: E05C1000 80860C37
	v_mfma_scale_f32_16x16x128_f8f6f4 v[172:175], a[76:79], v[216:219], v[172:175], v38, v24 op_sel_hi:[0,0,0] cbsz:4 blgp:4// 000000007500: D3AC7800 00023126 D3AD0CAC 8EB3B14C
	s_waitcnt vmcnt(18)                                        // 000000007510: BF8C4F72
	v_mfma_scale_f32_16x16x128_f8f6f4 v[144:147], a[80:83], v[208:211], v[144:147], v39, v24 op_sel_hi:[0,0,0] cbsz:4 blgp:4// 000000007514: D3AC6000 00023127 D3AD0C90 8E43A150
	buffer_load_dwordx4 a[16:19], v56, s[24:27], 0 offen       // 000000007524: E05C1000 80861038
	v_mfma_scale_f32_16x16x128_f8f6f4 v[176:179], a[80:83], v[216:219], v[176:179], v39, v24 op_sel_hi:[0,0,0] cbsz:4 blgp:4// 00000000752C: D3AC7000 00023127 D3AD0CB0 8EC3B150
	v_mfma_scale_f32_16x16x128_f8f6f4 v[148:151], a[84:87], v[208:211], v[148:151], v39, v24 op_sel_hi:[0,0,0] cbsz:4 blgp:4// 00000000753C: D3AC6800 00023127 D3AD0C94 8E53A154
	buffer_load_dwordx4 a[20:23], v57, s[24:27], 0 offen       // 00000000754C: E05C1000 80861439
	v_mfma_scale_f32_16x16x128_f8f6f4 v[180:183], a[84:87], v[216:219], v[180:183], v39, v24 op_sel_hi:[0,0,0] cbsz:4 blgp:4// 000000007554: D3AC7800 00023127 D3AD0CB4 8ED3B154
	s_waitcnt vmcnt(18)                                        // 000000007564: BF8C4F72
	v_mfma_scale_f32_16x16x128_f8f6f4 v[152:155], a[88:91], v[208:211], v[152:155], v40, v24 op_sel_hi:[0,0,0] cbsz:4 blgp:4// 000000007568: D3AC6000 00023128 D3AD0C98 8E63A158
	buffer_load_dwordx4 a[24:27], v58, s[24:27], 0 offen       // 000000007578: E05C1000 8086183A
	v_mfma_scale_f32_16x16x128_f8f6f4 v[184:187], a[88:91], v[216:219], v[184:187], v40, v24 op_sel_hi:[0,0,0] cbsz:4 blgp:4// 000000007580: D3AC7000 00023128 D3AD0CB8 8EE3B158
	v_mfma_scale_f32_16x16x128_f8f6f4 v[156:159], a[92:95], v[208:211], v[156:159], v40, v24 op_sel_hi:[0,0,0] cbsz:4 blgp:4// 000000007590: D3AC6800 00023128 D3AD0C9C 8E73A15C
	buffer_load_dwordx4 a[28:31], v59, s[24:27], 0 offen       // 0000000075A0: E05C1000 80861C3B
	v_mfma_scale_f32_16x16x128_f8f6f4 v[188:191], a[92:95], v[216:219], v[188:191], v40, v24 op_sel_hi:[0,0,0] cbsz:4 blgp:4// 0000000075A8: D3AC7800 00023128 D3AD0CBC 8EF3B15C
	s_waitcnt vmcnt(18)                                        // 0000000075B8: BF8C4F72
	v_mfma_scale_f32_16x16x128_f8f6f4 v[128:131], a[96:99], v[212:215], v[128:131], v37, v24 op_sel_hi:[0,0,0] cbsz:4 blgp:4// 0000000075BC: D3AC6000 18023125 D3AD0C80 8E03A960
	buffer_load_dwordx4 a[32:35], v52, s[24:27], 0 offen offset:1024// 0000000075CC: E05C1400 80862034
	v_mfma_scale_f32_16x16x128_f8f6f4 v[160:163], a[96:99], v[220:223], v[160:163], v37, v24 op_sel_hi:[0,0,0] cbsz:4 blgp:4// 0000000075D4: D3AC7000 18023125 D3AD0CA0 8E83B960
	ds_read_b128 v[192:195], v6                                // 0000000075E4: D9FE0000 C0000006
	ds_read_b128 v[196:199], v6 offset:64                      // 0000000075EC: D9FE0040 C4000006
	v_mfma_scale_f32_16x16x128_f8f6f4 v[132:135], a[100:103], v[212:215], v[132:135], v37, v24 op_sel_hi:[0,0,0] cbsz:4 blgp:4// 0000000075F4: D3AC6800 18023125 D3AD0C84 8E13A964
	buffer_load_dwordx4 a[36:39], v53, s[24:27], 0 offen offset:1024// 000000007604: E05C1400 80862435
	v_mfma_scale_f32_16x16x128_f8f6f4 v[164:167], a[100:103], v[220:223], v[164:167], v37, v24 op_sel_hi:[0,0,0] cbsz:4 blgp:4// 00000000760C: D3AC7800 18023125 D3AD0CA4 8E93B964
	ds_read_b128 v[200:203], v6 offset:512                     // 00000000761C: D9FE0200 C8000006
	ds_read_b128 v[204:207], v6 offset:576                     // 000000007624: D9FE0240 CC000006
	s_waitcnt vmcnt(18)                                        // 00000000762C: BF8C4F72
	v_mfma_scale_f32_16x16x128_f8f6f4 v[136:139], a[104:107], v[212:215], v[136:139], v38, v24 op_sel_hi:[0,0,0] cbsz:4 blgp:4// 000000007630: D3AC6000 18023126 D3AD0C88 8E23A968
	buffer_load_dwordx4 a[40:43], v54, s[24:27], 0 offen offset:1024// 000000007640: E05C1400 80862836
	v_mfma_scale_f32_16x16x128_f8f6f4 v[168:171], a[104:107], v[220:223], v[168:171], v38, v24 op_sel_hi:[0,0,0] cbsz:4 blgp:4// 000000007648: D3AC7000 18023126 D3AD0CA8 8EA3B968
	v_mfma_scale_f32_16x16x128_f8f6f4 v[140:143], a[108:111], v[212:215], v[140:143], v38, v24 op_sel_hi:[0,0,0] cbsz:4 blgp:4// 000000007658: D3AC6800 18023126 D3AD0C8C 8E33A96C
	buffer_load_dwordx4 a[44:47], v55, s[24:27], 0 offen offset:1024// 000000007668: E05C1400 80862C37
	v_mfma_scale_f32_16x16x128_f8f6f4 v[172:175], a[108:111], v[220:223], v[172:175], v38, v24 op_sel_hi:[0,0,0] cbsz:4 blgp:4// 000000007670: D3AC7800 18023126 D3AD0CAC 8EB3B96C
	s_waitcnt vmcnt(18)                                        // 000000007680: BF8C4F72
	v_mfma_scale_f32_16x16x128_f8f6f4 v[144:147], a[112:115], v[212:215], v[144:147], v39, v24 op_sel_hi:[0,0,0] cbsz:4 blgp:4// 000000007684: D3AC6000 18023127 D3AD0C90 8E43A970
	buffer_load_dwordx4 a[48:51], v56, s[24:27], 0 offen offset:1024// 000000007694: E05C1400 80863038
	v_mfma_scale_f32_16x16x128_f8f6f4 v[176:179], a[112:115], v[220:223], v[176:179], v39, v24 op_sel_hi:[0,0,0] cbsz:4 blgp:4// 00000000769C: D3AC7000 18023127 D3AD0CB0 8EC3B970
	v_mfma_scale_f32_16x16x128_f8f6f4 v[148:151], a[116:119], v[212:215], v[148:151], v39, v24 op_sel_hi:[0,0,0] cbsz:4 blgp:4// 0000000076AC: D3AC6800 18023127 D3AD0C94 8E53A974
	buffer_load_dwordx4 a[52:55], v57, s[24:27], 0 offen offset:1024// 0000000076BC: E05C1400 80863439
	v_mfma_scale_f32_16x16x128_f8f6f4 v[180:183], a[116:119], v[220:223], v[180:183], v39, v24 op_sel_hi:[0,0,0] cbsz:4 blgp:4// 0000000076C4: D3AC7800 18023127 D3AD0CB4 8ED3B974
	s_waitcnt vmcnt(18)                                        // 0000000076D4: BF8C4F72
	v_mfma_scale_f32_16x16x128_f8f6f4 v[152:155], a[120:123], v[212:215], v[152:155], v40, v24 op_sel_hi:[0,0,0] cbsz:4 blgp:4// 0000000076D8: D3AC6000 18023128 D3AD0C98 8E63A978
	buffer_load_dwordx4 a[56:59], v58, s[24:27], 0 offen offset:1024// 0000000076E8: E05C1400 8086383A
	v_mfma_scale_f32_16x16x128_f8f6f4 v[184:187], a[120:123], v[220:223], v[184:187], v40, v24 op_sel_hi:[0,0,0] cbsz:4 blgp:4// 0000000076F0: D3AC7000 18023128 D3AD0CB8 8EE3B978
	v_mfma_scale_f32_16x16x128_f8f6f4 v[156:159], a[124:127], v[212:215], v[156:159], v40, v24 op_sel_hi:[0,0,0] cbsz:4 blgp:4// 000000007700: D3AC6800 18023128 D3AD0C9C 8E73A97C
	buffer_load_dwordx4 a[60:63], v59, s[24:27], 0 offen offset:1024// 000000007710: E05C1400 80863C3B
	v_mfma_scale_f32_16x16x128_f8f6f4 v[188:191], a[124:127], v[220:223], v[188:191], v40, v24 op_sel_hi:[0,0,0] cbsz:4 blgp:4// 000000007718: D3AC7800 18023128 D3AD0CBC 8EF3B97C
	s_add_u32 s60, 0x200, s80                                  // 000000007728: 803C50FF 00000200
	s_cmp_lt_u32 s60, s81                                      // 000000007730: BF0A513C
	s_cselect_b32 s57, s57, 0                                  // 000000007734: 85398039
	s_cselect_b32 s3, s3, 0                                    // 000000007738: 85038003
	s_add_u32 s60, 0x200, s80                                  // 00000000773C: 803C50FF 00000200
	s_cmp_lt_u32 s60, s81                                      // 000000007744: BF0A513C
	s_cselect_b32 s58, s58, 0                                  // 000000007748: 853A803A
	s_add_u32 s20, s57, s20                                    // 00000000774C: 80141439
	s_addc_u32 s21, 0, s21                                     // 000000007750: 82151580
	s_add_u32 s28, s3, s28                                     // 000000007754: 801C1C03
	s_addc_u32 s29, 0, s29                                     // 000000007758: 821D1D80
	s_add_u32 s24, s58, s24                                    // 00000000775C: 8018183A
	s_addc_u32 s25, 0, s25                                     // 000000007760: 82191980
	s_add_u32 s92, s90, s92                                    // 000000007764: 805C5C5A
	s_addc_u32 s93, 0, s93                                     // 000000007768: 825D5D80
	s_addk_i32 s80, 0x100                                      // 00000000776C: B7500100
	s_cmp_lt_i32 s80, s81                                      // 000000007770: BF045150
	s_cbranch_scc0 label_125F                                  // 000000007774: BF840001
	s_branch label_0F4A                                        // 000000007778: BF82FCEB

000000000000777c <label_125F>:
	s_mov_b32 s36, -1                                          // 00000000777C: BEA400C1
	s_mov_b32 s37, -1                                          // 000000007780: BEA500C1
	s_mov_b64 s[60:61], 0                                      // 000000007784: BEBC0180
	s_cmp_lt_u32 s82, s66                                      // 000000007788: BF0A4252
	s_cselect_b64 s[20:21], s[36:37], s[60:61]                 // 00000000778C: 85943C24
	s_cmp_lt_u32 s83, s66                                      // 000000007790: BF0A4253
	s_cselect_b64 s[22:23], s[36:37], s[60:61]                 // 000000007794: 85963C24
	s_cmp_lt_u32 s84, s66                                      // 000000007798: BF0A4254
	s_cselect_b64 s[24:25], s[36:37], s[60:61]                 // 00000000779C: 85983C24
	s_cmp_lt_u32 s85, s66                                      // 0000000077A0: BF0A4255
	s_cselect_b64 s[26:27], s[36:37], s[60:61]                 // 0000000077A4: 859A3C24
	s_cmp_lt_u32 s86, s66                                      // 0000000077A8: BF0A4256
	s_cselect_b64 s[28:29], s[36:37], s[60:61]                 // 0000000077AC: 859C3C24
	s_cmp_lt_u32 s87, s66                                      // 0000000077B0: BF0A4257
	s_cselect_b64 s[30:31], s[36:37], s[60:61]                 // 0000000077B4: 859E3C24
	s_cmp_lt_u32 s88, s66                                      // 0000000077B8: BF0A4258
	s_cselect_b64 s[32:33], s[36:37], s[60:61]                 // 0000000077BC: 85A03C24
	s_cmp_lt_u32 s89, s66                                      // 0000000077C0: BF0A4259
	s_cselect_b64 s[34:35], s[36:37], s[60:61]                 // 0000000077C4: 85A23C24
	v_mov_b32_e32 v1, 0xbfcc4231                               // 0000000077C8: 7E0202FF BFCC4231
	s_waitcnt vmcnt(14)                                        // 0000000077D0: BF8C0F7E
	buffer_load_dwordx4 a[0:3], v60, s[12:15], 0 offen         // 0000000077D4: E05C1000 8083003C
	v_mul_f32_e32 v2, v64, v64                                 // 0000000077DC: 0A048140
	v_mul_f32_e32 v3, v65, v65                                 // 0000000077E0: 0A068341
	v_mul_f32_e32 v4, v66, v66                                 // 0000000077E4: 0A088542
	v_mul_f32_e32 v5, v67, v67                                 // 0000000077E8: 0A0A8743
	v_fma_f32 v2, v2, s77, v1                                  // 0000000077EC: D1CB0002 04049B02
	v_fma_f32 v3, v3, s77, v1                                  // 0000000077F4: D1CB0003 04049B03
	v_fma_f32 v4, v4, s77, v1                                  // 0000000077FC: D1CB0004 04049B04
	v_fma_f32 v5, v5, s77, v1                                  // 000000007804: D1CB0005 04049B05
	v_mul_f32_e32 v2, v2, v64                                  // 00000000780C: 0A048102
	v_mul_f32_e32 v3, v3, v65                                  // 000000007810: 0A068303
	v_mul_f32_e32 v4, v4, v66                                  // 000000007814: 0A088504
	v_mul_f32_e32 v5, v5, v67                                  // 000000007818: 0A0A8705
	v_mul_f32_e64 v2, v2, s6                                   // 00000000781C: D1050002 00000D02
	v_mul_f32_e64 v3, v3, s6                                   // 000000007824: D1050003 00000D03
	v_mul_f32_e64 v4, v4, s6                                   // 00000000782C: D1050004 00000D04
	v_mul_f32_e64 v5, v5, s6                                   // 000000007834: D1050005 00000D05
	v_exp_f32_e32 v2, v2                                       // 00000000783C: 7E044102
	v_exp_f32_e32 v3, v3                                       // 000000007840: 7E064103
	v_exp_f32_e32 v4, v4                                       // 000000007844: 7E084104
	v_exp_f32_e32 v5, v5                                       // 000000007848: 7E0A4105
	buffer_load_dwordx4 a[4:7], v61, s[12:15], 0 offen         // 00000000784C: E05C1000 8083043D
	v_add_f32_e64 v2, v2, 1.0                                  // 000000007854: D1010002 0001E502
	v_add_f32_e64 v3, v3, 1.0                                  // 00000000785C: D1010003 0001E503
	v_add_f32_e64 v4, v4, 1.0                                  // 000000007864: D1010004 0001E504
	v_add_f32_e64 v5, v5, 1.0                                  // 00000000786C: D1010005 0001E505
	v_rcp_f32_e32 v2, v2                                       // 000000007874: 7E044502
	v_rcp_f32_e32 v3, v3                                       // 000000007878: 7E064503
	v_rcp_f32_e32 v4, v4                                       // 00000000787C: 7E084504
	v_rcp_f32_e32 v5, v5                                       // 000000007880: 7E0A4505
	v_mul_f32_e32 v64, v64, v2                                 // 000000007884: 0A800540
	v_mul_f32_e32 v65, v65, v3                                 // 000000007888: 0A820741
	v_mul_f32_e32 v66, v66, v4                                 // 00000000788C: 0A840942
	v_mul_f32_e32 v67, v67, v5                                 // 000000007890: 0A860B43
	v_mul_f32_e32 v64, v64, v128                               // 000000007894: 0A810140
	v_mul_f32_e32 v65, v65, v129                               // 000000007898: 0A830341
	v_mul_f32_e32 v66, v66, v130                               // 00000000789C: 0A850542
	v_mul_f32_e32 v67, v67, v131                               // 0000000078A0: 0A870743
	s_waitcnt vmcnt(14)                                        // 0000000078A4: BF8C0F7E
	buffer_load_dwordx4 a[8:11], v62, s[12:15], 0 offen        // 0000000078A8: E05C1000 8083083E
	v_mul_f32_e32 v2, v68, v68                                 // 0000000078B0: 0A048944
	v_mul_f32_e32 v3, v69, v69                                 // 0000000078B4: 0A068B45
	v_mul_f32_e32 v4, v70, v70                                 // 0000000078B8: 0A088D46
	v_mul_f32_e32 v5, v71, v71                                 // 0000000078BC: 0A0A8F47
	v_fma_f32 v2, v2, s77, v1                                  // 0000000078C0: D1CB0002 04049B02
	v_fma_f32 v3, v3, s77, v1                                  // 0000000078C8: D1CB0003 04049B03
	v_fma_f32 v4, v4, s77, v1                                  // 0000000078D0: D1CB0004 04049B04
	v_fma_f32 v5, v5, s77, v1                                  // 0000000078D8: D1CB0005 04049B05
	v_mul_f32_e32 v2, v2, v68                                  // 0000000078E0: 0A048902
	v_mul_f32_e32 v3, v3, v69                                  // 0000000078E4: 0A068B03
	v_mul_f32_e32 v4, v4, v70                                  // 0000000078E8: 0A088D04
	v_mul_f32_e32 v5, v5, v71                                  // 0000000078EC: 0A0A8F05
	v_mul_f32_e64 v2, v2, s6                                   // 0000000078F0: D1050002 00000D02
	v_mul_f32_e64 v3, v3, s6                                   // 0000000078F8: D1050003 00000D03
	v_mul_f32_e64 v4, v4, s6                                   // 000000007900: D1050004 00000D04
	v_mul_f32_e64 v5, v5, s6                                   // 000000007908: D1050005 00000D05
	v_exp_f32_e32 v2, v2                                       // 000000007910: 7E044102
	v_exp_f32_e32 v3, v3                                       // 000000007914: 7E064103
	v_exp_f32_e32 v4, v4                                       // 000000007918: 7E084104
	v_exp_f32_e32 v5, v5                                       // 00000000791C: 7E0A4105
	buffer_load_dwordx4 a[12:15], v63, s[12:15], 0 offen       // 000000007920: E05C1000 80830C3F
	v_add_f32_e64 v2, v2, 1.0                                  // 000000007928: D1010002 0001E502
	v_add_f32_e64 v3, v3, 1.0                                  // 000000007930: D1010003 0001E503
	v_add_f32_e64 v4, v4, 1.0                                  // 000000007938: D1010004 0001E504
	v_add_f32_e64 v5, v5, 1.0                                  // 000000007940: D1010005 0001E505
	v_rcp_f32_e32 v2, v2                                       // 000000007948: 7E044502
	v_rcp_f32_e32 v3, v3                                       // 00000000794C: 7E064503
	v_rcp_f32_e32 v4, v4                                       // 000000007950: 7E084504
	v_rcp_f32_e32 v5, v5                                       // 000000007954: 7E0A4505
	v_mul_f32_e32 v68, v68, v2                                 // 000000007958: 0A880544
	v_mul_f32_e32 v69, v69, v3                                 // 00000000795C: 0A8A0745
	v_mul_f32_e32 v70, v70, v4                                 // 000000007960: 0A8C0946
	v_mul_f32_e32 v71, v71, v5                                 // 000000007964: 0A8E0B47
	v_mul_f32_e32 v68, v68, v132                               // 000000007968: 0A890944
	v_mul_f32_e32 v69, v69, v133                               // 00000000796C: 0A8B0B45
	v_mul_f32_e32 v70, v70, v134                               // 000000007970: 0A8D0D46
	v_mul_f32_e32 v71, v71, v135                               // 000000007974: 0A8F0F47
	s_waitcnt vmcnt(14)                                        // 000000007978: BF8C0F7E
	buffer_load_dwordx4 a[16:19], v60, s[12:15], 0 offen offset:1024// 00000000797C: E05C1400 8083103C
	v_mul_f32_e32 v2, v72, v72                                 // 000000007984: 0A049148
	v_mul_f32_e32 v3, v73, v73                                 // 000000007988: 0A069349
	v_mul_f32_e32 v4, v74, v74                                 // 00000000798C: 0A08954A
	v_mul_f32_e32 v5, v75, v75                                 // 000000007990: 0A0A974B
	v_fma_f32 v2, v2, s77, v1                                  // 000000007994: D1CB0002 04049B02
	v_fma_f32 v3, v3, s77, v1                                  // 00000000799C: D1CB0003 04049B03
	v_fma_f32 v4, v4, s77, v1                                  // 0000000079A4: D1CB0004 04049B04
	v_fma_f32 v5, v5, s77, v1                                  // 0000000079AC: D1CB0005 04049B05
	v_mul_f32_e32 v2, v2, v72                                  // 0000000079B4: 0A049102
	v_mul_f32_e32 v3, v3, v73                                  // 0000000079B8: 0A069303
	v_mul_f32_e32 v4, v4, v74                                  // 0000000079BC: 0A089504
	v_mul_f32_e32 v5, v5, v75                                  // 0000000079C0: 0A0A9705
	v_mul_f32_e64 v2, v2, s6                                   // 0000000079C4: D1050002 00000D02
	v_mul_f32_e64 v3, v3, s6                                   // 0000000079CC: D1050003 00000D03
	v_mul_f32_e64 v4, v4, s6                                   // 0000000079D4: D1050004 00000D04
	v_mul_f32_e64 v5, v5, s6                                   // 0000000079DC: D1050005 00000D05
	v_exp_f32_e32 v2, v2                                       // 0000000079E4: 7E044102
	v_exp_f32_e32 v3, v3                                       // 0000000079E8: 7E064103
	v_exp_f32_e32 v4, v4                                       // 0000000079EC: 7E084104
	v_exp_f32_e32 v5, v5                                       // 0000000079F0: 7E0A4105
	buffer_load_dwordx4 a[20:23], v61, s[12:15], 0 offen offset:1024// 0000000079F4: E05C1400 8083143D
	v_add_f32_e64 v2, v2, 1.0                                  // 0000000079FC: D1010002 0001E502
	v_add_f32_e64 v3, v3, 1.0                                  // 000000007A04: D1010003 0001E503
	v_add_f32_e64 v4, v4, 1.0                                  // 000000007A0C: D1010004 0001E504
	v_add_f32_e64 v5, v5, 1.0                                  // 000000007A14: D1010005 0001E505
	v_rcp_f32_e32 v2, v2                                       // 000000007A1C: 7E044502
	v_rcp_f32_e32 v3, v3                                       // 000000007A20: 7E064503
	v_rcp_f32_e32 v4, v4                                       // 000000007A24: 7E084504
	v_rcp_f32_e32 v5, v5                                       // 000000007A28: 7E0A4505
	v_mul_f32_e32 v72, v72, v2                                 // 000000007A2C: 0A900548
	v_mul_f32_e32 v73, v73, v3                                 // 000000007A30: 0A920749
	v_mul_f32_e32 v74, v74, v4                                 // 000000007A34: 0A94094A
	v_mul_f32_e32 v75, v75, v5                                 // 000000007A38: 0A960B4B
	v_mul_f32_e32 v72, v72, v136                               // 000000007A3C: 0A911148
	v_mul_f32_e32 v73, v73, v137                               // 000000007A40: 0A931349
	v_mul_f32_e32 v74, v74, v138                               // 000000007A44: 0A95154A
	v_mul_f32_e32 v75, v75, v139                               // 000000007A48: 0A97174B
	s_waitcnt vmcnt(14)                                        // 000000007A4C: BF8C0F7E
	buffer_load_dwordx4 a[24:27], v62, s[12:15], 0 offen offset:1024// 000000007A50: E05C1400 8083183E
	v_mul_f32_e32 v2, v76, v76                                 // 000000007A58: 0A04994C
	v_mul_f32_e32 v3, v77, v77                                 // 000000007A5C: 0A069B4D
	v_mul_f32_e32 v4, v78, v78                                 // 000000007A60: 0A089D4E
	v_mul_f32_e32 v5, v79, v79                                 // 000000007A64: 0A0A9F4F
	v_fma_f32 v2, v2, s77, v1                                  // 000000007A68: D1CB0002 04049B02
	v_fma_f32 v3, v3, s77, v1                                  // 000000007A70: D1CB0003 04049B03
	v_fma_f32 v4, v4, s77, v1                                  // 000000007A78: D1CB0004 04049B04
	v_fma_f32 v5, v5, s77, v1                                  // 000000007A80: D1CB0005 04049B05
	v_mul_f32_e32 v2, v2, v76                                  // 000000007A88: 0A049902
	v_mul_f32_e32 v3, v3, v77                                  // 000000007A8C: 0A069B03
	v_mul_f32_e32 v4, v4, v78                                  // 000000007A90: 0A089D04
	v_mul_f32_e32 v5, v5, v79                                  // 000000007A94: 0A0A9F05
	v_mul_f32_e64 v2, v2, s6                                   // 000000007A98: D1050002 00000D02
	v_mul_f32_e64 v3, v3, s6                                   // 000000007AA0: D1050003 00000D03
	v_mul_f32_e64 v4, v4, s6                                   // 000000007AA8: D1050004 00000D04
	v_mul_f32_e64 v5, v5, s6                                   // 000000007AB0: D1050005 00000D05
	v_exp_f32_e32 v2, v2                                       // 000000007AB8: 7E044102
	v_exp_f32_e32 v3, v3                                       // 000000007ABC: 7E064103
	v_exp_f32_e32 v4, v4                                       // 000000007AC0: 7E084104
	v_exp_f32_e32 v5, v5                                       // 000000007AC4: 7E0A4105
	buffer_load_dwordx4 a[28:31], v63, s[12:15], 0 offen offset:1024// 000000007AC8: E05C1400 80831C3F
	v_add_f32_e64 v2, v2, 1.0                                  // 000000007AD0: D1010002 0001E502
	v_add_f32_e64 v3, v3, 1.0                                  // 000000007AD8: D1010003 0001E503
	v_add_f32_e64 v4, v4, 1.0                                  // 000000007AE0: D1010004 0001E504
	v_add_f32_e64 v5, v5, 1.0                                  // 000000007AE8: D1010005 0001E505
	v_rcp_f32_e32 v2, v2                                       // 000000007AF0: 7E044502
	v_rcp_f32_e32 v3, v3                                       // 000000007AF4: 7E064503
	v_rcp_f32_e32 v4, v4                                       // 000000007AF8: 7E084504
	v_rcp_f32_e32 v5, v5                                       // 000000007AFC: 7E0A4505
	v_mul_f32_e32 v76, v76, v2                                 // 000000007B00: 0A98054C
	v_mul_f32_e32 v77, v77, v3                                 // 000000007B04: 0A9A074D
	v_mul_f32_e32 v78, v78, v4                                 // 000000007B08: 0A9C094E
	v_mul_f32_e32 v79, v79, v5                                 // 000000007B0C: 0A9E0B4F
	v_mul_f32_e32 v76, v76, v140                               // 000000007B10: 0A99194C
	v_mul_f32_e32 v77, v77, v141                               // 000000007B14: 0A9B1B4D
	v_mul_f32_e32 v78, v78, v142                               // 000000007B18: 0A9D1D4E
	v_mul_f32_e32 v79, v79, v143                               // 000000007B1C: 0A9F1F4F
	s_waitcnt vmcnt(14)                                        // 000000007B20: BF8C0F7E
	buffer_load_dwordx4 a[32:35], v60, s[12:15], 0 offen offset:2048// 000000007B24: E05C1800 8083203C
	v_mul_f32_e32 v2, v80, v80                                 // 000000007B2C: 0A04A150
	v_mul_f32_e32 v3, v81, v81                                 // 000000007B30: 0A06A351
	v_mul_f32_e32 v4, v82, v82                                 // 000000007B34: 0A08A552
	v_mul_f32_e32 v5, v83, v83                                 // 000000007B38: 0A0AA753
	v_fma_f32 v2, v2, s77, v1                                  // 000000007B3C: D1CB0002 04049B02
	v_fma_f32 v3, v3, s77, v1                                  // 000000007B44: D1CB0003 04049B03
	v_fma_f32 v4, v4, s77, v1                                  // 000000007B4C: D1CB0004 04049B04
	v_fma_f32 v5, v5, s77, v1                                  // 000000007B54: D1CB0005 04049B05
	v_mul_f32_e32 v2, v2, v80                                  // 000000007B5C: 0A04A102
	v_mul_f32_e32 v3, v3, v81                                  // 000000007B60: 0A06A303
	v_mul_f32_e32 v4, v4, v82                                  // 000000007B64: 0A08A504
	v_mul_f32_e32 v5, v5, v83                                  // 000000007B68: 0A0AA705
	v_mul_f32_e64 v2, v2, s6                                   // 000000007B6C: D1050002 00000D02
	v_mul_f32_e64 v3, v3, s6                                   // 000000007B74: D1050003 00000D03
	v_mul_f32_e64 v4, v4, s6                                   // 000000007B7C: D1050004 00000D04
	v_mul_f32_e64 v5, v5, s6                                   // 000000007B84: D1050005 00000D05
	v_exp_f32_e32 v2, v2                                       // 000000007B8C: 7E044102
	v_exp_f32_e32 v3, v3                                       // 000000007B90: 7E064103
	v_exp_f32_e32 v4, v4                                       // 000000007B94: 7E084104
	v_exp_f32_e32 v5, v5                                       // 000000007B98: 7E0A4105
	buffer_load_dwordx4 a[36:39], v61, s[12:15], 0 offen offset:2048// 000000007B9C: E05C1800 8083243D
	v_add_f32_e64 v2, v2, 1.0                                  // 000000007BA4: D1010002 0001E502
	v_add_f32_e64 v3, v3, 1.0                                  // 000000007BAC: D1010003 0001E503
	v_add_f32_e64 v4, v4, 1.0                                  // 000000007BB4: D1010004 0001E504
	v_add_f32_e64 v5, v5, 1.0                                  // 000000007BBC: D1010005 0001E505
	v_rcp_f32_e32 v2, v2                                       // 000000007BC4: 7E044502
	v_rcp_f32_e32 v3, v3                                       // 000000007BC8: 7E064503
	v_rcp_f32_e32 v4, v4                                       // 000000007BCC: 7E084504
	v_rcp_f32_e32 v5, v5                                       // 000000007BD0: 7E0A4505
	v_mul_f32_e32 v80, v80, v2                                 // 000000007BD4: 0AA00550
	v_mul_f32_e32 v81, v81, v3                                 // 000000007BD8: 0AA20751
	v_mul_f32_e32 v82, v82, v4                                 // 000000007BDC: 0AA40952
	v_mul_f32_e32 v83, v83, v5                                 // 000000007BE0: 0AA60B53
	v_mul_f32_e32 v80, v80, v144                               // 000000007BE4: 0AA12150
	v_mul_f32_e32 v81, v81, v145                               // 000000007BE8: 0AA32351
	v_mul_f32_e32 v82, v82, v146                               // 000000007BEC: 0AA52552
	v_mul_f32_e32 v83, v83, v147                               // 000000007BF0: 0AA72753
	s_waitcnt vmcnt(14)                                        // 000000007BF4: BF8C0F7E
	buffer_load_dwordx4 a[40:43], v62, s[12:15], 0 offen offset:2048// 000000007BF8: E05C1800 8083283E
	v_mul_f32_e32 v2, v84, v84                                 // 000000007C00: 0A04A954
	v_mul_f32_e32 v3, v85, v85                                 // 000000007C04: 0A06AB55
	v_mul_f32_e32 v4, v86, v86                                 // 000000007C08: 0A08AD56
	v_mul_f32_e32 v5, v87, v87                                 // 000000007C0C: 0A0AAF57
	v_fma_f32 v2, v2, s77, v1                                  // 000000007C10: D1CB0002 04049B02
	v_fma_f32 v3, v3, s77, v1                                  // 000000007C18: D1CB0003 04049B03
	v_fma_f32 v4, v4, s77, v1                                  // 000000007C20: D1CB0004 04049B04
	v_fma_f32 v5, v5, s77, v1                                  // 000000007C28: D1CB0005 04049B05
	v_mul_f32_e32 v2, v2, v84                                  // 000000007C30: 0A04A902
	v_mul_f32_e32 v3, v3, v85                                  // 000000007C34: 0A06AB03
	v_mul_f32_e32 v4, v4, v86                                  // 000000007C38: 0A08AD04
	v_mul_f32_e32 v5, v5, v87                                  // 000000007C3C: 0A0AAF05
	v_mul_f32_e64 v2, v2, s6                                   // 000000007C40: D1050002 00000D02
	v_mul_f32_e64 v3, v3, s6                                   // 000000007C48: D1050003 00000D03
	v_mul_f32_e64 v4, v4, s6                                   // 000000007C50: D1050004 00000D04
	v_mul_f32_e64 v5, v5, s6                                   // 000000007C58: D1050005 00000D05
	v_exp_f32_e32 v2, v2                                       // 000000007C60: 7E044102
	v_exp_f32_e32 v3, v3                                       // 000000007C64: 7E064103
	v_exp_f32_e32 v4, v4                                       // 000000007C68: 7E084104
	v_exp_f32_e32 v5, v5                                       // 000000007C6C: 7E0A4105
	buffer_load_dwordx4 a[44:47], v63, s[12:15], 0 offen offset:2048// 000000007C70: E05C1800 80832C3F
	v_add_f32_e64 v2, v2, 1.0                                  // 000000007C78: D1010002 0001E502
	v_add_f32_e64 v3, v3, 1.0                                  // 000000007C80: D1010003 0001E503
	v_add_f32_e64 v4, v4, 1.0                                  // 000000007C88: D1010004 0001E504
	v_add_f32_e64 v5, v5, 1.0                                  // 000000007C90: D1010005 0001E505
	v_rcp_f32_e32 v2, v2                                       // 000000007C98: 7E044502
	v_rcp_f32_e32 v3, v3                                       // 000000007C9C: 7E064503
	v_rcp_f32_e32 v4, v4                                       // 000000007CA0: 7E084504
	v_rcp_f32_e32 v5, v5                                       // 000000007CA4: 7E0A4505
	v_mul_f32_e32 v84, v84, v2                                 // 000000007CA8: 0AA80554
	v_mul_f32_e32 v85, v85, v3                                 // 000000007CAC: 0AAA0755
	v_mul_f32_e32 v86, v86, v4                                 // 000000007CB0: 0AAC0956
	v_mul_f32_e32 v87, v87, v5                                 // 000000007CB4: 0AAE0B57
	v_mul_f32_e32 v84, v84, v148                               // 000000007CB8: 0AA92954
	v_mul_f32_e32 v85, v85, v149                               // 000000007CBC: 0AAB2B55
	v_mul_f32_e32 v86, v86, v150                               // 000000007CC0: 0AAD2D56
	v_mul_f32_e32 v87, v87, v151                               // 000000007CC4: 0AAF2F57
	s_waitcnt vmcnt(14)                                        // 000000007CC8: BF8C0F7E
	buffer_load_dwordx4 a[48:51], v60, s[12:15], 0 offen offset:3072// 000000007CCC: E05C1C00 8083303C
	v_mul_f32_e32 v2, v88, v88                                 // 000000007CD4: 0A04B158
	v_mul_f32_e32 v3, v89, v89                                 // 000000007CD8: 0A06B359
	v_mul_f32_e32 v4, v90, v90                                 // 000000007CDC: 0A08B55A
	v_mul_f32_e32 v5, v91, v91                                 // 000000007CE0: 0A0AB75B
	v_fma_f32 v2, v2, s77, v1                                  // 000000007CE4: D1CB0002 04049B02
	v_fma_f32 v3, v3, s77, v1                                  // 000000007CEC: D1CB0003 04049B03
	v_fma_f32 v4, v4, s77, v1                                  // 000000007CF4: D1CB0004 04049B04
	v_fma_f32 v5, v5, s77, v1                                  // 000000007CFC: D1CB0005 04049B05
	v_mul_f32_e32 v2, v2, v88                                  // 000000007D04: 0A04B102
	v_mul_f32_e32 v3, v3, v89                                  // 000000007D08: 0A06B303
	v_mul_f32_e32 v4, v4, v90                                  // 000000007D0C: 0A08B504
	v_mul_f32_e32 v5, v5, v91                                  // 000000007D10: 0A0AB705
	v_mul_f32_e64 v2, v2, s6                                   // 000000007D14: D1050002 00000D02
	v_mul_f32_e64 v3, v3, s6                                   // 000000007D1C: D1050003 00000D03
	v_mul_f32_e64 v4, v4, s6                                   // 000000007D24: D1050004 00000D04
	v_mul_f32_e64 v5, v5, s6                                   // 000000007D2C: D1050005 00000D05
	v_exp_f32_e32 v2, v2                                       // 000000007D34: 7E044102
	v_exp_f32_e32 v3, v3                                       // 000000007D38: 7E064103
	v_exp_f32_e32 v4, v4                                       // 000000007D3C: 7E084104
	v_exp_f32_e32 v5, v5                                       // 000000007D40: 7E0A4105
	buffer_load_dwordx4 a[52:55], v61, s[12:15], 0 offen offset:3072// 000000007D44: E05C1C00 8083343D
	v_add_f32_e64 v2, v2, 1.0                                  // 000000007D4C: D1010002 0001E502
	v_add_f32_e64 v3, v3, 1.0                                  // 000000007D54: D1010003 0001E503
	v_add_f32_e64 v4, v4, 1.0                                  // 000000007D5C: D1010004 0001E504
	v_add_f32_e64 v5, v5, 1.0                                  // 000000007D64: D1010005 0001E505
	v_rcp_f32_e32 v2, v2                                       // 000000007D6C: 7E044502
	v_rcp_f32_e32 v3, v3                                       // 000000007D70: 7E064503
	v_rcp_f32_e32 v4, v4                                       // 000000007D74: 7E084504
	v_rcp_f32_e32 v5, v5                                       // 000000007D78: 7E0A4505
	v_mul_f32_e32 v88, v88, v2                                 // 000000007D7C: 0AB00558
	v_mul_f32_e32 v89, v89, v3                                 // 000000007D80: 0AB20759
	v_mul_f32_e32 v90, v90, v4                                 // 000000007D84: 0AB4095A
	v_mul_f32_e32 v91, v91, v5                                 // 000000007D88: 0AB60B5B
	v_mul_f32_e32 v88, v88, v152                               // 000000007D8C: 0AB13158
	v_mul_f32_e32 v89, v89, v153                               // 000000007D90: 0AB33359
	v_mul_f32_e32 v90, v90, v154                               // 000000007D94: 0AB5355A
	v_mul_f32_e32 v91, v91, v155                               // 000000007D98: 0AB7375B
	s_waitcnt vmcnt(14)                                        // 000000007D9C: BF8C0F7E
	buffer_load_dwordx4 a[56:59], v62, s[12:15], 0 offen offset:3072// 000000007DA0: E05C1C00 8083383E
	v_mul_f32_e32 v2, v92, v92                                 // 000000007DA8: 0A04B95C
	v_mul_f32_e32 v3, v93, v93                                 // 000000007DAC: 0A06BB5D
	v_mul_f32_e32 v4, v94, v94                                 // 000000007DB0: 0A08BD5E
	v_mul_f32_e32 v5, v95, v95                                 // 000000007DB4: 0A0ABF5F
	v_fma_f32 v2, v2, s77, v1                                  // 000000007DB8: D1CB0002 04049B02
	v_fma_f32 v3, v3, s77, v1                                  // 000000007DC0: D1CB0003 04049B03
	v_fma_f32 v4, v4, s77, v1                                  // 000000007DC8: D1CB0004 04049B04
	v_fma_f32 v5, v5, s77, v1                                  // 000000007DD0: D1CB0005 04049B05
	v_mul_f32_e32 v2, v2, v92                                  // 000000007DD8: 0A04B902
	v_mul_f32_e32 v3, v3, v93                                  // 000000007DDC: 0A06BB03
	v_mul_f32_e32 v4, v4, v94                                  // 000000007DE0: 0A08BD04
	v_mul_f32_e32 v5, v5, v95                                  // 000000007DE4: 0A0ABF05
	v_mul_f32_e64 v2, v2, s6                                   // 000000007DE8: D1050002 00000D02
	v_mul_f32_e64 v3, v3, s6                                   // 000000007DF0: D1050003 00000D03
	v_mul_f32_e64 v4, v4, s6                                   // 000000007DF8: D1050004 00000D04
	v_mul_f32_e64 v5, v5, s6                                   // 000000007E00: D1050005 00000D05
	v_exp_f32_e32 v2, v2                                       // 000000007E08: 7E044102
	v_exp_f32_e32 v3, v3                                       // 000000007E0C: 7E064103
	v_exp_f32_e32 v4, v4                                       // 000000007E10: 7E084104
	v_exp_f32_e32 v5, v5                                       // 000000007E14: 7E0A4105
	buffer_load_dwordx4 a[60:63], v63, s[12:15], 0 offen offset:3072// 000000007E18: E05C1C00 80833C3F
	v_add_f32_e64 v2, v2, 1.0                                  // 000000007E20: D1010002 0001E502
	v_add_f32_e64 v3, v3, 1.0                                  // 000000007E28: D1010003 0001E503
	v_add_f32_e64 v4, v4, 1.0                                  // 000000007E30: D1010004 0001E504
	v_add_f32_e64 v5, v5, 1.0                                  // 000000007E38: D1010005 0001E505
	v_rcp_f32_e32 v2, v2                                       // 000000007E40: 7E044502
	v_rcp_f32_e32 v3, v3                                       // 000000007E44: 7E064503
	v_rcp_f32_e32 v4, v4                                       // 000000007E48: 7E084504
	v_rcp_f32_e32 v5, v5                                       // 000000007E4C: 7E0A4505
	v_mul_f32_e32 v92, v92, v2                                 // 000000007E50: 0AB8055C
	v_mul_f32_e32 v93, v93, v3                                 // 000000007E54: 0ABA075D
	v_mul_f32_e32 v94, v94, v4                                 // 000000007E58: 0ABC095E
	v_mul_f32_e32 v95, v95, v5                                 // 000000007E5C: 0ABE0B5F
	v_mul_f32_e32 v92, v92, v156                               // 000000007E60: 0AB9395C
	v_mul_f32_e32 v93, v93, v157                               // 000000007E64: 0ABB3B5D
	v_mul_f32_e32 v94, v94, v158                               // 000000007E68: 0ABD3D5E
	v_mul_f32_e32 v95, v95, v159                               // 000000007E6C: 0ABF3F5F
	s_waitcnt vmcnt(14)                                        // 000000007E70: BF8C0F7E
	v_mul_f32_e32 v2, v96, v96                                 // 000000007E74: 0A04C160
	v_mul_f32_e32 v3, v97, v97                                 // 000000007E78: 0A06C361
	v_mul_f32_e32 v4, v98, v98                                 // 000000007E7C: 0A08C562
	v_mul_f32_e32 v5, v99, v99                                 // 000000007E80: 0A0AC763
	v_fma_f32 v2, v2, s77, v1                                  // 000000007E84: D1CB0002 04049B02
	v_fma_f32 v3, v3, s77, v1                                  // 000000007E8C: D1CB0003 04049B03
	v_fma_f32 v4, v4, s77, v1                                  // 000000007E94: D1CB0004 04049B04
	v_fma_f32 v5, v5, s77, v1                                  // 000000007E9C: D1CB0005 04049B05
	v_mul_f32_e32 v2, v2, v96                                  // 000000007EA4: 0A04C102
	v_mul_f32_e32 v3, v3, v97                                  // 000000007EA8: 0A06C303
	v_mul_f32_e32 v4, v4, v98                                  // 000000007EAC: 0A08C504
	v_mul_f32_e32 v5, v5, v99                                  // 000000007EB0: 0A0AC705
	v_mul_f32_e64 v2, v2, s6                                   // 000000007EB4: D1050002 00000D02
	v_mul_f32_e64 v3, v3, s6                                   // 000000007EBC: D1050003 00000D03
	v_mul_f32_e64 v4, v4, s6                                   // 000000007EC4: D1050004 00000D04
	v_mul_f32_e64 v5, v5, s6                                   // 000000007ECC: D1050005 00000D05
	v_exp_f32_e32 v2, v2                                       // 000000007ED4: 7E044102
	v_exp_f32_e32 v3, v3                                       // 000000007ED8: 7E064103
	v_exp_f32_e32 v4, v4                                       // 000000007EDC: 7E084104
	v_exp_f32_e32 v5, v5                                       // 000000007EE0: 7E0A4105
	v_add_f32_e64 v2, v2, 1.0                                  // 000000007EE4: D1010002 0001E502
	v_add_f32_e64 v3, v3, 1.0                                  // 000000007EEC: D1010003 0001E503
	v_add_f32_e64 v4, v4, 1.0                                  // 000000007EF4: D1010004 0001E504
	v_add_f32_e64 v5, v5, 1.0                                  // 000000007EFC: D1010005 0001E505
	v_rcp_f32_e32 v2, v2                                       // 000000007F04: 7E044502
	v_rcp_f32_e32 v3, v3                                       // 000000007F08: 7E064503
	v_rcp_f32_e32 v4, v4                                       // 000000007F0C: 7E084504
	v_rcp_f32_e32 v5, v5                                       // 000000007F10: 7E0A4505
	v_mul_f32_e32 v96, v96, v2                                 // 000000007F14: 0AC00560
	v_mul_f32_e32 v97, v97, v3                                 // 000000007F18: 0AC20761
	v_mul_f32_e32 v98, v98, v4                                 // 000000007F1C: 0AC40962
	v_mul_f32_e32 v99, v99, v5                                 // 000000007F20: 0AC60B63
	v_mul_f32_e32 v96, v96, v160                               // 000000007F24: 0AC14160
	v_mul_f32_e32 v97, v97, v161                               // 000000007F28: 0AC34361
	v_mul_f32_e32 v98, v98, v162                               // 000000007F2C: 0AC54562
	v_mul_f32_e32 v99, v99, v163                               // 000000007F30: 0AC74763
	s_waitcnt vmcnt(14)                                        // 000000007F34: BF8C0F7E
	v_mul_f32_e32 v2, v100, v100                               // 000000007F38: 0A04C964
	v_mul_f32_e32 v3, v101, v101                               // 000000007F3C: 0A06CB65
	v_mul_f32_e32 v4, v102, v102                               // 000000007F40: 0A08CD66
	v_mul_f32_e32 v5, v103, v103                               // 000000007F44: 0A0ACF67
	v_fma_f32 v2, v2, s77, v1                                  // 000000007F48: D1CB0002 04049B02
	v_fma_f32 v3, v3, s77, v1                                  // 000000007F50: D1CB0003 04049B03
	v_fma_f32 v4, v4, s77, v1                                  // 000000007F58: D1CB0004 04049B04
	v_fma_f32 v5, v5, s77, v1                                  // 000000007F60: D1CB0005 04049B05
	v_mul_f32_e32 v2, v2, v100                                 // 000000007F68: 0A04C902
	v_mul_f32_e32 v3, v3, v101                                 // 000000007F6C: 0A06CB03
	v_mul_f32_e32 v4, v4, v102                                 // 000000007F70: 0A08CD04
	v_mul_f32_e32 v5, v5, v103                                 // 000000007F74: 0A0ACF05
	v_mul_f32_e64 v2, v2, s6                                   // 000000007F78: D1050002 00000D02
	v_mul_f32_e64 v3, v3, s6                                   // 000000007F80: D1050003 00000D03
	v_mul_f32_e64 v4, v4, s6                                   // 000000007F88: D1050004 00000D04
	v_mul_f32_e64 v5, v5, s6                                   // 000000007F90: D1050005 00000D05
	v_exp_f32_e32 v2, v2                                       // 000000007F98: 7E044102
	v_exp_f32_e32 v3, v3                                       // 000000007F9C: 7E064103
	v_exp_f32_e32 v4, v4                                       // 000000007FA0: 7E084104
	v_exp_f32_e32 v5, v5                                       // 000000007FA4: 7E0A4105
	v_add_f32_e64 v2, v2, 1.0                                  // 000000007FA8: D1010002 0001E502
	v_add_f32_e64 v3, v3, 1.0                                  // 000000007FB0: D1010003 0001E503
	v_add_f32_e64 v4, v4, 1.0                                  // 000000007FB8: D1010004 0001E504
	v_add_f32_e64 v5, v5, 1.0                                  // 000000007FC0: D1010005 0001E505
	v_rcp_f32_e32 v2, v2                                       // 000000007FC8: 7E044502
	v_rcp_f32_e32 v3, v3                                       // 000000007FCC: 7E064503
	v_rcp_f32_e32 v4, v4                                       // 000000007FD0: 7E084504
	v_rcp_f32_e32 v5, v5                                       // 000000007FD4: 7E0A4505
	v_mul_f32_e32 v100, v100, v2                               // 000000007FD8: 0AC80564
	v_mul_f32_e32 v101, v101, v3                               // 000000007FDC: 0ACA0765
	v_mul_f32_e32 v102, v102, v4                               // 000000007FE0: 0ACC0966
	v_mul_f32_e32 v103, v103, v5                               // 000000007FE4: 0ACE0B67
	v_mul_f32_e32 v100, v100, v164                             // 000000007FE8: 0AC94964
	v_mul_f32_e32 v101, v101, v165                             // 000000007FEC: 0ACB4B65
	v_mul_f32_e32 v102, v102, v166                             // 000000007FF0: 0ACD4D66
	v_mul_f32_e32 v103, v103, v167                             // 000000007FF4: 0ACF4F67
	s_waitcnt vmcnt(14)                                        // 000000007FF8: BF8C0F7E
	v_mul_f32_e32 v2, v104, v104                               // 000000007FFC: 0A04D168
	v_mul_f32_e32 v3, v105, v105                               // 000000008000: 0A06D369
	v_mul_f32_e32 v4, v106, v106                               // 000000008004: 0A08D56A
	v_mul_f32_e32 v5, v107, v107                               // 000000008008: 0A0AD76B
	v_fma_f32 v2, v2, s77, v1                                  // 00000000800C: D1CB0002 04049B02
	v_fma_f32 v3, v3, s77, v1                                  // 000000008014: D1CB0003 04049B03
	v_fma_f32 v4, v4, s77, v1                                  // 00000000801C: D1CB0004 04049B04
	v_fma_f32 v5, v5, s77, v1                                  // 000000008024: D1CB0005 04049B05
	v_mul_f32_e32 v2, v2, v104                                 // 00000000802C: 0A04D102
	v_mul_f32_e32 v3, v3, v105                                 // 000000008030: 0A06D303
	v_mul_f32_e32 v4, v4, v106                                 // 000000008034: 0A08D504
	v_mul_f32_e32 v5, v5, v107                                 // 000000008038: 0A0AD705
	v_mul_f32_e64 v2, v2, s6                                   // 00000000803C: D1050002 00000D02
	v_mul_f32_e64 v3, v3, s6                                   // 000000008044: D1050003 00000D03
	v_mul_f32_e64 v4, v4, s6                                   // 00000000804C: D1050004 00000D04
	v_mul_f32_e64 v5, v5, s6                                   // 000000008054: D1050005 00000D05
	v_exp_f32_e32 v2, v2                                       // 00000000805C: 7E044102
	v_exp_f32_e32 v3, v3                                       // 000000008060: 7E064103
	v_exp_f32_e32 v4, v4                                       // 000000008064: 7E084104
	v_exp_f32_e32 v5, v5                                       // 000000008068: 7E0A4105
	v_add_f32_e64 v2, v2, 1.0                                  // 00000000806C: D1010002 0001E502
	v_add_f32_e64 v3, v3, 1.0                                  // 000000008074: D1010003 0001E503
	v_add_f32_e64 v4, v4, 1.0                                  // 00000000807C: D1010004 0001E504
	v_add_f32_e64 v5, v5, 1.0                                  // 000000008084: D1010005 0001E505
	v_rcp_f32_e32 v2, v2                                       // 00000000808C: 7E044502
	v_rcp_f32_e32 v3, v3                                       // 000000008090: 7E064503
	v_rcp_f32_e32 v4, v4                                       // 000000008094: 7E084504
	v_rcp_f32_e32 v5, v5                                       // 000000008098: 7E0A4505
	v_mul_f32_e32 v104, v104, v2                               // 00000000809C: 0AD00568
	v_mul_f32_e32 v105, v105, v3                               // 0000000080A0: 0AD20769
	v_mul_f32_e32 v106, v106, v4                               // 0000000080A4: 0AD4096A
	v_mul_f32_e32 v107, v107, v5                               // 0000000080A8: 0AD60B6B
	v_mul_f32_e32 v104, v104, v168                             // 0000000080AC: 0AD15168
	v_mul_f32_e32 v105, v105, v169                             // 0000000080B0: 0AD35369
	v_mul_f32_e32 v106, v106, v170                             // 0000000080B4: 0AD5556A
	v_mul_f32_e32 v107, v107, v171                             // 0000000080B8: 0AD7576B
	s_waitcnt vmcnt(14)                                        // 0000000080BC: BF8C0F7E
	v_mul_f32_e32 v2, v108, v108                               // 0000000080C0: 0A04D96C
	v_mul_f32_e32 v3, v109, v109                               // 0000000080C4: 0A06DB6D
	v_mul_f32_e32 v4, v110, v110                               // 0000000080C8: 0A08DD6E
	v_mul_f32_e32 v5, v111, v111                               // 0000000080CC: 0A0ADF6F
	v_fma_f32 v2, v2, s77, v1                                  // 0000000080D0: D1CB0002 04049B02
	v_fma_f32 v3, v3, s77, v1                                  // 0000000080D8: D1CB0003 04049B03
	v_fma_f32 v4, v4, s77, v1                                  // 0000000080E0: D1CB0004 04049B04
	v_fma_f32 v5, v5, s77, v1                                  // 0000000080E8: D1CB0005 04049B05
	v_mul_f32_e32 v2, v2, v108                                 // 0000000080F0: 0A04D902
	v_mul_f32_e32 v3, v3, v109                                 // 0000000080F4: 0A06DB03
	v_mul_f32_e32 v4, v4, v110                                 // 0000000080F8: 0A08DD04
	v_mul_f32_e32 v5, v5, v111                                 // 0000000080FC: 0A0ADF05
	v_mul_f32_e64 v2, v2, s6                                   // 000000008100: D1050002 00000D02
	v_mul_f32_e64 v3, v3, s6                                   // 000000008108: D1050003 00000D03
	v_mul_f32_e64 v4, v4, s6                                   // 000000008110: D1050004 00000D04
	v_mul_f32_e64 v5, v5, s6                                   // 000000008118: D1050005 00000D05
	v_exp_f32_e32 v2, v2                                       // 000000008120: 7E044102
	v_exp_f32_e32 v3, v3                                       // 000000008124: 7E064103
	v_exp_f32_e32 v4, v4                                       // 000000008128: 7E084104
	v_exp_f32_e32 v5, v5                                       // 00000000812C: 7E0A4105
	v_add_f32_e64 v2, v2, 1.0                                  // 000000008130: D1010002 0001E502
	v_add_f32_e64 v3, v3, 1.0                                  // 000000008138: D1010003 0001E503
	v_add_f32_e64 v4, v4, 1.0                                  // 000000008140: D1010004 0001E504
	v_add_f32_e64 v5, v5, 1.0                                  // 000000008148: D1010005 0001E505
	v_rcp_f32_e32 v2, v2                                       // 000000008150: 7E044502
	v_rcp_f32_e32 v3, v3                                       // 000000008154: 7E064503
	v_rcp_f32_e32 v4, v4                                       // 000000008158: 7E084504
	v_rcp_f32_e32 v5, v5                                       // 00000000815C: 7E0A4505
	v_mul_f32_e32 v108, v108, v2                               // 000000008160: 0AD8056C
	v_mul_f32_e32 v109, v109, v3                               // 000000008164: 0ADA076D
	v_mul_f32_e32 v110, v110, v4                               // 000000008168: 0ADC096E
	v_mul_f32_e32 v111, v111, v5                               // 00000000816C: 0ADE0B6F
	v_mul_f32_e32 v108, v108, v172                             // 000000008170: 0AD9596C
	v_mul_f32_e32 v109, v109, v173                             // 000000008174: 0ADB5B6D
	v_mul_f32_e32 v110, v110, v174                             // 000000008178: 0ADD5D6E
	v_mul_f32_e32 v111, v111, v175                             // 00000000817C: 0ADF5F6F
	s_waitcnt vmcnt(14)                                        // 000000008180: BF8C0F7E
	v_mul_f32_e32 v2, v112, v112                               // 000000008184: 0A04E170
	v_mul_f32_e32 v3, v113, v113                               // 000000008188: 0A06E371
	v_mul_f32_e32 v4, v114, v114                               // 00000000818C: 0A08E572
	v_mul_f32_e32 v5, v115, v115                               // 000000008190: 0A0AE773
	v_fma_f32 v2, v2, s77, v1                                  // 000000008194: D1CB0002 04049B02
	v_fma_f32 v3, v3, s77, v1                                  // 00000000819C: D1CB0003 04049B03
	v_fma_f32 v4, v4, s77, v1                                  // 0000000081A4: D1CB0004 04049B04
	v_fma_f32 v5, v5, s77, v1                                  // 0000000081AC: D1CB0005 04049B05
	v_mul_f32_e32 v2, v2, v112                                 // 0000000081B4: 0A04E102
	v_mul_f32_e32 v3, v3, v113                                 // 0000000081B8: 0A06E303
	v_mul_f32_e32 v4, v4, v114                                 // 0000000081BC: 0A08E504
	v_mul_f32_e32 v5, v5, v115                                 // 0000000081C0: 0A0AE705
	v_mul_f32_e64 v2, v2, s6                                   // 0000000081C4: D1050002 00000D02
	v_mul_f32_e64 v3, v3, s6                                   // 0000000081CC: D1050003 00000D03
	v_mul_f32_e64 v4, v4, s6                                   // 0000000081D4: D1050004 00000D04
	v_mul_f32_e64 v5, v5, s6                                   // 0000000081DC: D1050005 00000D05
	v_exp_f32_e32 v2, v2                                       // 0000000081E4: 7E044102
	v_exp_f32_e32 v3, v3                                       // 0000000081E8: 7E064103
	v_exp_f32_e32 v4, v4                                       // 0000000081EC: 7E084104
	v_exp_f32_e32 v5, v5                                       // 0000000081F0: 7E0A4105
	v_add_f32_e64 v2, v2, 1.0                                  // 0000000081F4: D1010002 0001E502
	v_add_f32_e64 v3, v3, 1.0                                  // 0000000081FC: D1010003 0001E503
	v_add_f32_e64 v4, v4, 1.0                                  // 000000008204: D1010004 0001E504
	v_add_f32_e64 v5, v5, 1.0                                  // 00000000820C: D1010005 0001E505
	v_rcp_f32_e32 v2, v2                                       // 000000008214: 7E044502
	v_rcp_f32_e32 v3, v3                                       // 000000008218: 7E064503
	v_rcp_f32_e32 v4, v4                                       // 00000000821C: 7E084504
	v_rcp_f32_e32 v5, v5                                       // 000000008220: 7E0A4505
	v_mul_f32_e32 v112, v112, v2                               // 000000008224: 0AE00570
	v_mul_f32_e32 v113, v113, v3                               // 000000008228: 0AE20771
	v_mul_f32_e32 v114, v114, v4                               // 00000000822C: 0AE40972
	v_mul_f32_e32 v115, v115, v5                               // 000000008230: 0AE60B73
	v_mul_f32_e32 v112, v112, v176                             // 000000008234: 0AE16170
	v_mul_f32_e32 v113, v113, v177                             // 000000008238: 0AE36371
	v_mul_f32_e32 v114, v114, v178                             // 00000000823C: 0AE56572
	v_mul_f32_e32 v115, v115, v179                             // 000000008240: 0AE76773
	s_waitcnt vmcnt(14)                                        // 000000008244: BF8C0F7E
	v_mul_f32_e32 v2, v116, v116                               // 000000008248: 0A04E974
	v_mul_f32_e32 v3, v117, v117                               // 00000000824C: 0A06EB75
	v_mul_f32_e32 v4, v118, v118                               // 000000008250: 0A08ED76
	v_mul_f32_e32 v5, v119, v119                               // 000000008254: 0A0AEF77
	v_fma_f32 v2, v2, s77, v1                                  // 000000008258: D1CB0002 04049B02
	v_fma_f32 v3, v3, s77, v1                                  // 000000008260: D1CB0003 04049B03
	v_fma_f32 v4, v4, s77, v1                                  // 000000008268: D1CB0004 04049B04
	v_fma_f32 v5, v5, s77, v1                                  // 000000008270: D1CB0005 04049B05
	v_mul_f32_e32 v2, v2, v116                                 // 000000008278: 0A04E902
	v_mul_f32_e32 v3, v3, v117                                 // 00000000827C: 0A06EB03
	v_mul_f32_e32 v4, v4, v118                                 // 000000008280: 0A08ED04
	v_mul_f32_e32 v5, v5, v119                                 // 000000008284: 0A0AEF05
	v_mul_f32_e64 v2, v2, s6                                   // 000000008288: D1050002 00000D02
	v_mul_f32_e64 v3, v3, s6                                   // 000000008290: D1050003 00000D03
	v_mul_f32_e64 v4, v4, s6                                   // 000000008298: D1050004 00000D04
	v_mul_f32_e64 v5, v5, s6                                   // 0000000082A0: D1050005 00000D05
	v_exp_f32_e32 v2, v2                                       // 0000000082A8: 7E044102
	v_exp_f32_e32 v3, v3                                       // 0000000082AC: 7E064103
	v_exp_f32_e32 v4, v4                                       // 0000000082B0: 7E084104
	v_exp_f32_e32 v5, v5                                       // 0000000082B4: 7E0A4105
	v_add_f32_e64 v2, v2, 1.0                                  // 0000000082B8: D1010002 0001E502
	v_add_f32_e64 v3, v3, 1.0                                  // 0000000082C0: D1010003 0001E503
	v_add_f32_e64 v4, v4, 1.0                                  // 0000000082C8: D1010004 0001E504
	v_add_f32_e64 v5, v5, 1.0                                  // 0000000082D0: D1010005 0001E505
	v_rcp_f32_e32 v2, v2                                       // 0000000082D8: 7E044502
	v_rcp_f32_e32 v3, v3                                       // 0000000082DC: 7E064503
	v_rcp_f32_e32 v4, v4                                       // 0000000082E0: 7E084504
	v_rcp_f32_e32 v5, v5                                       // 0000000082E4: 7E0A4505
	v_mul_f32_e32 v116, v116, v2                               // 0000000082E8: 0AE80574
	v_mul_f32_e32 v117, v117, v3                               // 0000000082EC: 0AEA0775
	v_mul_f32_e32 v118, v118, v4                               // 0000000082F0: 0AEC0976
	v_mul_f32_e32 v119, v119, v5                               // 0000000082F4: 0AEE0B77
	v_mul_f32_e32 v116, v116, v180                             // 0000000082F8: 0AE96974
	v_mul_f32_e32 v117, v117, v181                             // 0000000082FC: 0AEB6B75
	v_mul_f32_e32 v118, v118, v182                             // 000000008300: 0AED6D76
	v_mul_f32_e32 v119, v119, v183                             // 000000008304: 0AEF6F77
	s_waitcnt vmcnt(14)                                        // 000000008308: BF8C0F7E
	v_mul_f32_e32 v2, v120, v120                               // 00000000830C: 0A04F178
	v_mul_f32_e32 v3, v121, v121                               // 000000008310: 0A06F379
	v_mul_f32_e32 v4, v122, v122                               // 000000008314: 0A08F57A
	v_mul_f32_e32 v5, v123, v123                               // 000000008318: 0A0AF77B
	v_fma_f32 v2, v2, s77, v1                                  // 00000000831C: D1CB0002 04049B02
	v_fma_f32 v3, v3, s77, v1                                  // 000000008324: D1CB0003 04049B03
	v_fma_f32 v4, v4, s77, v1                                  // 00000000832C: D1CB0004 04049B04
	v_fma_f32 v5, v5, s77, v1                                  // 000000008334: D1CB0005 04049B05
	v_mul_f32_e32 v2, v2, v120                                 // 00000000833C: 0A04F102
	v_mul_f32_e32 v3, v3, v121                                 // 000000008340: 0A06F303
	v_mul_f32_e32 v4, v4, v122                                 // 000000008344: 0A08F504
	v_mul_f32_e32 v5, v5, v123                                 // 000000008348: 0A0AF705
	v_mul_f32_e64 v2, v2, s6                                   // 00000000834C: D1050002 00000D02
	v_mul_f32_e64 v3, v3, s6                                   // 000000008354: D1050003 00000D03
	v_mul_f32_e64 v4, v4, s6                                   // 00000000835C: D1050004 00000D04
	v_mul_f32_e64 v5, v5, s6                                   // 000000008364: D1050005 00000D05
	v_exp_f32_e32 v2, v2                                       // 00000000836C: 7E044102
	v_exp_f32_e32 v3, v3                                       // 000000008370: 7E064103
	v_exp_f32_e32 v4, v4                                       // 000000008374: 7E084104
	v_exp_f32_e32 v5, v5                                       // 000000008378: 7E0A4105
	v_add_f32_e64 v2, v2, 1.0                                  // 00000000837C: D1010002 0001E502
	v_add_f32_e64 v3, v3, 1.0                                  // 000000008384: D1010003 0001E503
	v_add_f32_e64 v4, v4, 1.0                                  // 00000000838C: D1010004 0001E504
	v_add_f32_e64 v5, v5, 1.0                                  // 000000008394: D1010005 0001E505
	v_rcp_f32_e32 v2, v2                                       // 00000000839C: 7E044502
	v_rcp_f32_e32 v3, v3                                       // 0000000083A0: 7E064503
	v_rcp_f32_e32 v4, v4                                       // 0000000083A4: 7E084504
	v_rcp_f32_e32 v5, v5                                       // 0000000083A8: 7E0A4505
	v_mul_f32_e32 v120, v120, v2                               // 0000000083AC: 0AF00578
	v_mul_f32_e32 v121, v121, v3                               // 0000000083B0: 0AF20779
	v_mul_f32_e32 v122, v122, v4                               // 0000000083B4: 0AF4097A
	v_mul_f32_e32 v123, v123, v5                               // 0000000083B8: 0AF60B7B
	v_mul_f32_e32 v120, v120, v184                             // 0000000083BC: 0AF17178
	v_mul_f32_e32 v121, v121, v185                             // 0000000083C0: 0AF37379
	v_mul_f32_e32 v122, v122, v186                             // 0000000083C4: 0AF5757A
	v_mul_f32_e32 v123, v123, v187                             // 0000000083C8: 0AF7777B
	s_waitcnt vmcnt(14)                                        // 0000000083CC: BF8C0F7E
	v_mul_f32_e32 v2, v124, v124                               // 0000000083D0: 0A04F97C
	v_mul_f32_e32 v3, v125, v125                               // 0000000083D4: 0A06FB7D
	v_mul_f32_e32 v4, v126, v126                               // 0000000083D8: 0A08FD7E
	v_mul_f32_e32 v5, v127, v127                               // 0000000083DC: 0A0AFF7F
	v_fma_f32 v2, v2, s77, v1                                  // 0000000083E0: D1CB0002 04049B02
	v_fma_f32 v3, v3, s77, v1                                  // 0000000083E8: D1CB0003 04049B03
	v_fma_f32 v4, v4, s77, v1                                  // 0000000083F0: D1CB0004 04049B04
	v_fma_f32 v5, v5, s77, v1                                  // 0000000083F8: D1CB0005 04049B05
	v_mul_f32_e32 v2, v2, v124                                 // 000000008400: 0A04F902
	v_mul_f32_e32 v3, v3, v125                                 // 000000008404: 0A06FB03
	v_mul_f32_e32 v4, v4, v126                                 // 000000008408: 0A08FD04
	v_mul_f32_e32 v5, v5, v127                                 // 00000000840C: 0A0AFF05
	v_mul_f32_e64 v2, v2, s6                                   // 000000008410: D1050002 00000D02
	v_mul_f32_e64 v3, v3, s6                                   // 000000008418: D1050003 00000D03
	v_mul_f32_e64 v4, v4, s6                                   // 000000008420: D1050004 00000D04
	v_mul_f32_e64 v5, v5, s6                                   // 000000008428: D1050005 00000D05
	v_exp_f32_e32 v2, v2                                       // 000000008430: 7E044102
	v_exp_f32_e32 v3, v3                                       // 000000008434: 7E064103
	v_exp_f32_e32 v4, v4                                       // 000000008438: 7E084104
	v_exp_f32_e32 v5, v5                                       // 00000000843C: 7E0A4105
	v_add_f32_e64 v2, v2, 1.0                                  // 000000008440: D1010002 0001E502
	v_add_f32_e64 v3, v3, 1.0                                  // 000000008448: D1010003 0001E503
	v_add_f32_e64 v4, v4, 1.0                                  // 000000008450: D1010004 0001E504
	v_add_f32_e64 v5, v5, 1.0                                  // 000000008458: D1010005 0001E505
	v_rcp_f32_e32 v2, v2                                       // 000000008460: 7E044502
	v_rcp_f32_e32 v3, v3                                       // 000000008464: 7E064503
	v_rcp_f32_e32 v4, v4                                       // 000000008468: 7E084504
	v_rcp_f32_e32 v5, v5                                       // 00000000846C: 7E0A4505
	v_mul_f32_e32 v124, v124, v2                               // 000000008470: 0AF8057C
	v_mul_f32_e32 v125, v125, v3                               // 000000008474: 0AFA077D
	v_mul_f32_e32 v126, v126, v4                               // 000000008478: 0AFC097E
	v_mul_f32_e32 v127, v127, v5                               // 00000000847C: 0AFE0B7F
	v_mul_f32_e32 v124, v124, v188                             // 000000008480: 0AF9797C
	v_mul_f32_e32 v125, v125, v189                             // 000000008484: 0AFB7B7D
	v_mul_f32_e32 v126, v126, v190                             // 000000008488: 0AFD7D7E
	v_mul_f32_e32 v127, v127, v191                             // 00000000848C: 0AFF7F7F
	v_lshlrev_b32_e32 v2, 2, v0                                // 000000008490: 24040082
	s_mul_i32 s60, s82, s71                                    // 000000008494: 923C4752
	v_add_u32_e64 v144, v2, s60                                // 000000008498: D1340090 00007902
	v_mov_b32_e32 v145, 0                                      // 0000000084A0: 7F220280
	s_mul_i32 s60, s83, s71                                    // 0000000084A4: 923C4753
	v_add_u32_e64 v146, v2, s60                                // 0000000084A8: D1340092 00007902
	v_mov_b32_e32 v147, 0                                      // 0000000084B0: 7F260280
	s_mul_i32 s60, s84, s71                                    // 0000000084B4: 923C4754
	v_add_u32_e64 v148, v2, s60                                // 0000000084B8: D1340094 00007902
	v_mov_b32_e32 v149, 0                                      // 0000000084C0: 7F2A0280
	s_mul_i32 s60, s85, s71                                    // 0000000084C4: 923C4755
	v_add_u32_e64 v150, v2, s60                                // 0000000084C8: D1340096 00007902
	v_mov_b32_e32 v151, 0                                      // 0000000084D0: 7F2E0280
	s_mul_i32 s60, s86, s71                                    // 0000000084D4: 923C4756
	v_add_u32_e64 v152, v2, s60                                // 0000000084D8: D1340098 00007902
	v_mov_b32_e32 v153, 0                                      // 0000000084E0: 7F320280
	s_mul_i32 s60, s87, s71                                    // 0000000084E4: 923C4757
	v_add_u32_e64 v154, v2, s60                                // 0000000084E8: D134009A 00007902
	v_mov_b32_e32 v155, 0                                      // 0000000084F0: 7F360280
	s_mul_i32 s60, s88, s71                                    // 0000000084F4: 923C4758
	v_add_u32_e64 v156, v2, s60                                // 0000000084F8: D134009C 00007902
	v_mov_b32_e32 v157, 0                                      // 000000008500: 7F3A0280
	s_mul_i32 s60, s89, s71                                    // 000000008504: 923C4759
	v_add_u32_e64 v158, v2, s60                                // 000000008508: D134009E 00007902
	v_mov_b32_e32 v159, 0                                      // 000000008510: 7F3E0280
	buffer_load_dword v25, v10, s[16:19], 0 offen              // 000000008514: E0501000 8004190A
	buffer_load_dword v26, v11, s[16:19], 0 offen              // 00000000851C: E0501000 80041A0B
	buffer_load_dword v27, v10, s[16:19], 0 offen offset:256   // 000000008524: E0501100 80041B0A
	buffer_load_dword v28, v11, s[16:19], 0 offen offset:256   // 00000000852C: E0501100 80041C0B
	v_mov_b32_e32 v43, 0x358637bd                              // 000000008534: 7E5602FF 358637BD
	v_mov_b32_e32 v44, 0x358637bd                              // 00000000853C: 7E5802FF 358637BD
	v_max3_f32 v43, |v64|, |v65|, v43                          // 000000008544: D1D3032B 04AE8340
	v_max3_f32 v43, |v66|, |v67|, v43                          // 00000000854C: D1D3032B 04AE8742
	v_max3_f32 v43, |v68|, |v69|, v43                          // 000000008554: D1D3032B 04AE8B44
	v_max3_f32 v43, |v70|, |v71|, v43                          // 00000000855C: D1D3032B 04AE8F46
	v_max3_f32 v44, |v96|, |v97|, v44                          // 000000008564: D1D3032C 04B2C360
	v_max3_f32 v44, |v98|, |v99|, v44                          // 00000000856C: D1D3032C 04B2C762
	v_max3_f32 v44, |v100|, |v101|, v44                        // 000000008574: D1D3032C 04B2CB64
	v_max3_f32 v44, |v102|, |v103|, v44                        // 00000000857C: D1D3032C 04B2CF66
	v_mov_b32_e32 v2, v43                                      // 000000008584: 7E04032B
	s_nop 1                                                    // 000000008588: BF800001
	v_permlane32_swap_b32_e32 v2, v43                          // 00000000858C: 7E04B52B
	v_max_f32_e32 v43, v2, v43                                 // 000000008590: 16565702
	v_mov_b32_e32 v2, v43                                      // 000000008594: 7E04032B
	s_nop 1                                                    // 000000008598: BF800001
	v_permlane16_swap_b32_e32 v2, v43                          // 00000000859C: 7E04B32B
	v_max_f32_e32 v43, v2, v43                                 // 0000000085A0: 16565702
	v_mov_b32_e32 v2, v44                                      // 0000000085A4: 7E04032C
	s_nop 1                                                    // 0000000085A8: BF800001
	v_permlane32_swap_b32_e32 v2, v44                          // 0000000085AC: 7E04B52C
	v_max_f32_e32 v44, v2, v44                                 // 0000000085B0: 16585902
	v_mov_b32_e32 v2, v44                                      // 0000000085B4: 7E04032C
	s_nop 1                                                    // 0000000085B8: BF800001
	v_permlane16_swap_b32_e32 v2, v44                          // 0000000085BC: 7E04B32C
	v_max_f32_e32 v44, v2, v44                                 // 0000000085C0: 16585902
	v_mov_b32_e32 v2, 0x3e800000                               // 0000000085C4: 7E0402FF 3E800000
	v_mul_f32_e32 v43, v2, v43                                 // 0000000085CC: 0A565702
	v_mul_f32_e32 v44, v2, v44                                 // 0000000085D0: 0A585902
	v_mov_b32_e32 v1, 0x7fff0000                               // 0000000085D4: 7E0202FF 7FFF0000
	v_mov_b32_e32 v5, 0x7fbfffff                               // 0000000085DC: 7E0A02FF 7FBFFFFF
	v_bfe_u32 v2, v43, 22, 1                                   // 0000000085E4: D1C80002 02052D2B
	v_and_b32_e32 v3, v43, v5                                  // 0000000085EC: 26060B2B
	v_cmp_eq_u32_e64 s[60:61], v3, 0                           // 0000000085F0: D0CA003C 00010103
	v_cndmask_b32_e64 v4, 1, 0, s[60:61]                       // 0000000085F8: D1000004 00F10081
	v_and_b32_e32 v4, v4, v2                                   // 000000008600: 26080504
	v_bfe_u32 v5, v43, 23, 8                                   // 000000008604: D1C80005 02212F2B
	v_add_u32_e32 v5, v5, v4                                   // 00000000860C: 680A0905
	v_cmp_u_f32_e64 s[60:61], v43, v43                         // 000000008610: D048003C 0002572B
	v_lshlrev_b32_e32 v43, 23, v5                              // 000000008618: 24560A97
	v_cndmask_b32_e64 v43, v43, v1, s[60:61]                   // 00000000861C: D100002B 00F2032B
	v_mov_b32_e32 v5, 0x7fbfffff                               // 000000008624: 7E0A02FF 7FBFFFFF
	v_bfe_u32 v2, v44, 22, 1                                   // 00000000862C: D1C80002 02052D2C
	v_and_b32_e32 v3, v44, v5                                  // 000000008634: 26060B2C
	v_cmp_eq_u32_e64 s[60:61], v3, 0                           // 000000008638: D0CA003C 00010103
	v_cndmask_b32_e64 v4, 1, 0, s[60:61]                       // 000000008640: D1000004 00F10081
	v_and_b32_e32 v4, v4, v2                                   // 000000008648: 26080504
	v_bfe_u32 v5, v44, 23, 8                                   // 00000000864C: D1C80005 02212F2C
	v_add_u32_e32 v5, v5, v4                                   // 000000008654: 680A0905
	v_cmp_u_f32_e64 s[60:61], v44, v44                         // 000000008658: D048003C 0002592C
	v_lshlrev_b32_e32 v44, 23, v5                              // 000000008660: 24580A97
	v_cndmask_b32_e64 v44, v44, v1, s[60:61]                   // 000000008664: D100002C 00F2032C
	s_mov_b32 s60, 0xffff                                      // 00000000866C: BEBC00FF 0000FFFF
	v_cvt_scalef32_pk_fp4_f32 v64, v64, v65, v43               // 000000008674: D23D0040 04AE8340
	v_cvt_scalef32_pk_fp4_f32 v64, v66, v67, v43 op_sel:[0,0,1,0]// 00000000867C: D23D2040 04AE8742
	v_cvt_scalef32_pk_fp4_f32 v68, v68, v69, v43               // 000000008684: D23D0044 04AE8B44
	v_cvt_scalef32_pk_fp4_f32 v68, v70, v71, v43 op_sel:[0,0,1,0]// 00000000868C: D23D2044 04AE8F46
	s_nop 1                                                    // 000000008694: BF800001
	v_permlane16_swap_b32_e32 v64, v68                         // 000000008698: 7E80B344
	s_nop 1                                                    // 00000000869C: BF800001
	v_and_b32_e64 v64, v64, s60                                // 0000000086A0: D1130040 00007940
	v_lshlrev_b32_e32 v68, 16, v68                             // 0000000086A8: 24888890
	v_or_b32_e32 v64, v64, v68                                 // 0000000086AC: 28808940
	v_mov_b32_e32 v68, v64                                     // 0000000086B0: 7E880340
	s_nop 1                                                    // 0000000086B4: BF800001
	v_permlane32_swap_b32_e32 v64, v68                         // 0000000086B8: 7E80B544
	s_nop 1                                                    // 0000000086BC: BF800001
	v_permlane16_swap_b32_e32 v64, v68                         // 0000000086C0: 7E80B344
	s_nop 1                                                    // 0000000086C4: BF800001
	v_permlane32_swap_b32_e32 v64, v68                         // 0000000086C8: 7E80B544
	s_nop 1                                                    // 0000000086CC: BF800001
	v_cvt_scalef32_pk_fp4_f32 v96, v96, v97, v44               // 0000000086D0: D23D0060 04B2C360
	v_cvt_scalef32_pk_fp4_f32 v96, v98, v99, v44 op_sel:[0,0,1,0]// 0000000086D8: D23D2060 04B2C762
	v_cvt_scalef32_pk_fp4_f32 v100, v100, v101, v44            // 0000000086E0: D23D0064 04B2CB64
	v_cvt_scalef32_pk_fp4_f32 v100, v102, v103, v44 op_sel:[0,0,1,0]// 0000000086E8: D23D2064 04B2CF66
	s_nop 1                                                    // 0000000086F0: BF800001
	v_permlane16_swap_b32_e32 v96, v100                        // 0000000086F4: 7EC0B364
	s_nop 1                                                    // 0000000086F8: BF800001
	v_and_b32_e64 v96, v96, s60                                // 0000000086FC: D1130060 00007960
	v_lshlrev_b32_e32 v100, 16, v100                           // 000000008704: 24C8C890
	v_or_b32_e32 v96, v96, v100                                // 000000008708: 28C0C960
	v_mov_b32_e32 v100, v96                                    // 00000000870C: 7EC80360
	s_nop 1                                                    // 000000008710: BF800001
	v_permlane32_swap_b32_e32 v96, v100                        // 000000008714: 7EC0B564
	s_nop 1                                                    // 000000008718: BF800001
	v_permlane16_swap_b32_e32 v96, v100                        // 00000000871C: 7EC0B364
	s_nop 1                                                    // 000000008720: BF800001
	v_permlane32_swap_b32_e32 v96, v100                        // 000000008724: 7EC0B564
	s_nop 1                                                    // 000000008728: BF800001
	v_mov_b32_e32 v45, 0x358637bd                              // 00000000872C: 7E5A02FF 358637BD
	v_mov_b32_e32 v46, 0x358637bd                              // 000000008734: 7E5C02FF 358637BD
	v_max3_f32 v45, |v72|, |v73|, v45                          // 00000000873C: D1D3032D 04B69348
	v_max3_f32 v45, |v74|, |v75|, v45                          // 000000008744: D1D3032D 04B6974A
	v_max3_f32 v45, |v76|, |v77|, v45                          // 00000000874C: D1D3032D 04B69B4C
	v_max3_f32 v45, |v78|, |v79|, v45                          // 000000008754: D1D3032D 04B69F4E
	v_max3_f32 v46, |v104|, |v105|, v46                        // 00000000875C: D1D3032E 04BAD368
	v_max3_f32 v46, |v106|, |v107|, v46                        // 000000008764: D1D3032E 04BAD76A
	v_max3_f32 v46, |v108|, |v109|, v46                        // 00000000876C: D1D3032E 04BADB6C
	v_max3_f32 v46, |v110|, |v111|, v46                        // 000000008774: D1D3032E 04BADF6E
	v_mov_b32_e32 v2, v45                                      // 00000000877C: 7E04032D
	s_nop 1                                                    // 000000008780: BF800001
	v_permlane32_swap_b32_e32 v2, v45                          // 000000008784: 7E04B52D
	v_max_f32_e32 v45, v2, v45                                 // 000000008788: 165A5B02
	v_mov_b32_e32 v2, v45                                      // 00000000878C: 7E04032D
	s_nop 1                                                    // 000000008790: BF800001
	v_permlane16_swap_b32_e32 v2, v45                          // 000000008794: 7E04B32D
	v_max_f32_e32 v45, v2, v45                                 // 000000008798: 165A5B02
	v_mov_b32_e32 v2, v46                                      // 00000000879C: 7E04032E
	s_nop 1                                                    // 0000000087A0: BF800001
	v_permlane32_swap_b32_e32 v2, v46                          // 0000000087A4: 7E04B52E
	v_max_f32_e32 v46, v2, v46                                 // 0000000087A8: 165C5D02
	v_mov_b32_e32 v2, v46                                      // 0000000087AC: 7E04032E
	s_nop 1                                                    // 0000000087B0: BF800001
	v_permlane16_swap_b32_e32 v2, v46                          // 0000000087B4: 7E04B32E
	v_max_f32_e32 v46, v2, v46                                 // 0000000087B8: 165C5D02
	v_mov_b32_e32 v2, 0x3e800000                               // 0000000087BC: 7E0402FF 3E800000
	v_mul_f32_e32 v45, v2, v45                                 // 0000000087C4: 0A5A5B02
	v_mul_f32_e32 v46, v2, v46                                 // 0000000087C8: 0A5C5D02
	v_mov_b32_e32 v1, 0x7fff0000                               // 0000000087CC: 7E0202FF 7FFF0000
	v_mov_b32_e32 v5, 0x7fbfffff                               // 0000000087D4: 7E0A02FF 7FBFFFFF
	v_bfe_u32 v2, v45, 22, 1                                   // 0000000087DC: D1C80002 02052D2D
	v_and_b32_e32 v3, v45, v5                                  // 0000000087E4: 26060B2D
	v_cmp_eq_u32_e64 s[60:61], v3, 0                           // 0000000087E8: D0CA003C 00010103
	v_cndmask_b32_e64 v4, 1, 0, s[60:61]                       // 0000000087F0: D1000004 00F10081
	v_and_b32_e32 v4, v4, v2                                   // 0000000087F8: 26080504
	v_bfe_u32 v5, v45, 23, 8                                   // 0000000087FC: D1C80005 02212F2D
	v_add_u32_e32 v5, v5, v4                                   // 000000008804: 680A0905
	v_cmp_u_f32_e64 s[60:61], v45, v45                         // 000000008808: D048003C 00025B2D
	v_lshlrev_b32_e32 v45, 23, v5                              // 000000008810: 245A0A97
	v_cndmask_b32_e64 v45, v45, v1, s[60:61]                   // 000000008814: D100002D 00F2032D
	v_mov_b32_e32 v5, 0x7fbfffff                               // 00000000881C: 7E0A02FF 7FBFFFFF
	v_bfe_u32 v2, v46, 22, 1                                   // 000000008824: D1C80002 02052D2E
	v_and_b32_e32 v3, v46, v5                                  // 00000000882C: 26060B2E
	v_cmp_eq_u32_e64 s[60:61], v3, 0                           // 000000008830: D0CA003C 00010103
	v_cndmask_b32_e64 v4, 1, 0, s[60:61]                       // 000000008838: D1000004 00F10081
	v_and_b32_e32 v4, v4, v2                                   // 000000008840: 26080504
	v_bfe_u32 v5, v46, 23, 8                                   // 000000008844: D1C80005 02212F2E
	v_add_u32_e32 v5, v5, v4                                   // 00000000884C: 680A0905
	v_cmp_u_f32_e64 s[60:61], v46, v46                         // 000000008850: D048003C 00025D2E
	v_lshlrev_b32_e32 v46, 23, v5                              // 000000008858: 245C0A97
	v_cndmask_b32_e64 v46, v46, v1, s[60:61]                   // 00000000885C: D100002E 00F2032E
	s_mov_b32 s60, 0xffff                                      // 000000008864: BEBC00FF 0000FFFF
	v_cvt_scalef32_pk_fp4_f32 v72, v72, v73, v45               // 00000000886C: D23D0048 04B69348
	v_cvt_scalef32_pk_fp4_f32 v72, v74, v75, v45 op_sel:[0,0,1,0]// 000000008874: D23D2048 04B6974A
	v_cvt_scalef32_pk_fp4_f32 v76, v76, v77, v45               // 00000000887C: D23D004C 04B69B4C
	v_cvt_scalef32_pk_fp4_f32 v76, v78, v79, v45 op_sel:[0,0,1,0]// 000000008884: D23D204C 04B69F4E
	s_nop 1                                                    // 00000000888C: BF800001
	v_permlane16_swap_b32_e32 v72, v76                         // 000000008890: 7E90B34C
	s_nop 1                                                    // 000000008894: BF800001
	v_and_b32_e64 v72, v72, s60                                // 000000008898: D1130048 00007948
	v_lshlrev_b32_e32 v76, 16, v76                             // 0000000088A0: 24989890
	v_or_b32_e32 v72, v72, v76                                 // 0000000088A4: 28909948
	v_mov_b32_e32 v76, v72                                     // 0000000088A8: 7E980348
	s_nop 1                                                    // 0000000088AC: BF800001
	v_permlane32_swap_b32_e32 v72, v76                         // 0000000088B0: 7E90B54C
	s_nop 1                                                    // 0000000088B4: BF800001
	v_permlane16_swap_b32_e32 v72, v76                         // 0000000088B8: 7E90B34C
	s_nop 1                                                    // 0000000088BC: BF800001
	v_permlane32_swap_b32_e32 v72, v76                         // 0000000088C0: 7E90B54C
	s_nop 1                                                    // 0000000088C4: BF800001
	v_cvt_scalef32_pk_fp4_f32 v104, v104, v105, v46            // 0000000088C8: D23D0068 04BAD368
	v_cvt_scalef32_pk_fp4_f32 v104, v106, v107, v46 op_sel:[0,0,1,0]// 0000000088D0: D23D2068 04BAD76A
	v_cvt_scalef32_pk_fp4_f32 v108, v108, v109, v46            // 0000000088D8: D23D006C 04BADB6C
	v_cvt_scalef32_pk_fp4_f32 v108, v110, v111, v46 op_sel:[0,0,1,0]// 0000000088E0: D23D206C 04BADF6E
	s_nop 1                                                    // 0000000088E8: BF800001
	v_permlane16_swap_b32_e32 v104, v108                       // 0000000088EC: 7ED0B36C
	s_nop 1                                                    // 0000000088F0: BF800001
	v_and_b32_e64 v104, v104, s60                              // 0000000088F4: D1130068 00007968
	v_lshlrev_b32_e32 v108, 16, v108                           // 0000000088FC: 24D8D890
	v_or_b32_e32 v104, v104, v108                              // 000000008900: 28D0D968
	v_mov_b32_e32 v108, v104                                   // 000000008904: 7ED80368
	s_nop 1                                                    // 000000008908: BF800001
	v_permlane32_swap_b32_e32 v104, v108                       // 00000000890C: 7ED0B56C
	s_nop 1                                                    // 000000008910: BF800001
	v_permlane16_swap_b32_e32 v104, v108                       // 000000008914: 7ED0B36C
	s_nop 1                                                    // 000000008918: BF800001
	v_permlane32_swap_b32_e32 v104, v108                       // 00000000891C: 7ED0B56C
	s_nop 1                                                    // 000000008920: BF800001
	v_mov_b32_e32 v47, 0x358637bd                              // 000000008924: 7E5E02FF 358637BD
	v_mov_b32_e32 v48, 0x358637bd                              // 00000000892C: 7E6002FF 358637BD
	v_max3_f32 v47, |v80|, |v81|, v47                          // 000000008934: D1D3032F 04BEA350
	v_max3_f32 v47, |v82|, |v83|, v47                          // 00000000893C: D1D3032F 04BEA752
	v_max3_f32 v47, |v84|, |v85|, v47                          // 000000008944: D1D3032F 04BEAB54
	v_max3_f32 v47, |v86|, |v87|, v47                          // 00000000894C: D1D3032F 04BEAF56
	v_max3_f32 v48, |v112|, |v113|, v48                        // 000000008954: D1D30330 04C2E370
	v_max3_f32 v48, |v114|, |v115|, v48                        // 00000000895C: D1D30330 04C2E772
	v_max3_f32 v48, |v116|, |v117|, v48                        // 000000008964: D1D30330 04C2EB74
	v_max3_f32 v48, |v118|, |v119|, v48                        // 00000000896C: D1D30330 04C2EF76
	v_mov_b32_e32 v2, v47                                      // 000000008974: 7E04032F
	s_nop 1                                                    // 000000008978: BF800001
	v_permlane32_swap_b32_e32 v2, v47                          // 00000000897C: 7E04B52F
	v_max_f32_e32 v47, v2, v47                                 // 000000008980: 165E5F02
	v_mov_b32_e32 v2, v47                                      // 000000008984: 7E04032F
	s_nop 1                                                    // 000000008988: BF800001
	v_permlane16_swap_b32_e32 v2, v47                          // 00000000898C: 7E04B32F
	v_max_f32_e32 v47, v2, v47                                 // 000000008990: 165E5F02
	v_mov_b32_e32 v2, v48                                      // 000000008994: 7E040330
	s_nop 1                                                    // 000000008998: BF800001
	v_permlane32_swap_b32_e32 v2, v48                          // 00000000899C: 7E04B530
	v_max_f32_e32 v48, v2, v48                                 // 0000000089A0: 16606102
	v_mov_b32_e32 v2, v48                                      // 0000000089A4: 7E040330
	s_nop 1                                                    // 0000000089A8: BF800001
	v_permlane16_swap_b32_e32 v2, v48                          // 0000000089AC: 7E04B330
	v_max_f32_e32 v48, v2, v48                                 // 0000000089B0: 16606102
	v_mov_b32_e32 v2, 0x3e800000                               // 0000000089B4: 7E0402FF 3E800000
	v_mul_f32_e32 v47, v2, v47                                 // 0000000089BC: 0A5E5F02
	v_mul_f32_e32 v48, v2, v48                                 // 0000000089C0: 0A606102
	v_mov_b32_e32 v1, 0x7fff0000                               // 0000000089C4: 7E0202FF 7FFF0000
	v_mov_b32_e32 v5, 0x7fbfffff                               // 0000000089CC: 7E0A02FF 7FBFFFFF
	v_bfe_u32 v2, v47, 22, 1                                   // 0000000089D4: D1C80002 02052D2F
	v_and_b32_e32 v3, v47, v5                                  // 0000000089DC: 26060B2F
	v_cmp_eq_u32_e64 s[60:61], v3, 0                           // 0000000089E0: D0CA003C 00010103
	v_cndmask_b32_e64 v4, 1, 0, s[60:61]                       // 0000000089E8: D1000004 00F10081
	v_and_b32_e32 v4, v4, v2                                   // 0000000089F0: 26080504
	v_bfe_u32 v5, v47, 23, 8                                   // 0000000089F4: D1C80005 02212F2F
	v_add_u32_e32 v5, v5, v4                                   // 0000000089FC: 680A0905
	v_cmp_u_f32_e64 s[60:61], v47, v47                         // 000000008A00: D048003C 00025F2F
	v_lshlrev_b32_e32 v47, 23, v5                              // 000000008A08: 245E0A97
	v_cndmask_b32_e64 v47, v47, v1, s[60:61]                   // 000000008A0C: D100002F 00F2032F
	v_mov_b32_e32 v5, 0x7fbfffff                               // 000000008A14: 7E0A02FF 7FBFFFFF
	v_bfe_u32 v2, v48, 22, 1                                   // 000000008A1C: D1C80002 02052D30
	v_and_b32_e32 v3, v48, v5                                  // 000000008A24: 26060B30
	v_cmp_eq_u32_e64 s[60:61], v3, 0                           // 000000008A28: D0CA003C 00010103
	v_cndmask_b32_e64 v4, 1, 0, s[60:61]                       // 000000008A30: D1000004 00F10081
	v_and_b32_e32 v4, v4, v2                                   // 000000008A38: 26080504
	v_bfe_u32 v5, v48, 23, 8                                   // 000000008A3C: D1C80005 02212F30
	v_add_u32_e32 v5, v5, v4                                   // 000000008A44: 680A0905
	v_cmp_u_f32_e64 s[60:61], v48, v48                         // 000000008A48: D048003C 00026130
	v_lshlrev_b32_e32 v48, 23, v5                              // 000000008A50: 24600A97
	v_cndmask_b32_e64 v48, v48, v1, s[60:61]                   // 000000008A54: D1000030 00F20330
	s_mov_b32 s60, 0xffff                                      // 000000008A5C: BEBC00FF 0000FFFF
	v_cvt_scalef32_pk_fp4_f32 v80, v80, v81, v47               // 000000008A64: D23D0050 04BEA350
	v_cvt_scalef32_pk_fp4_f32 v80, v82, v83, v47 op_sel:[0,0,1,0]// 000000008A6C: D23D2050 04BEA752
	v_cvt_scalef32_pk_fp4_f32 v84, v84, v85, v47               // 000000008A74: D23D0054 04BEAB54
	v_cvt_scalef32_pk_fp4_f32 v84, v86, v87, v47 op_sel:[0,0,1,0]// 000000008A7C: D23D2054 04BEAF56
	s_nop 1                                                    // 000000008A84: BF800001
	v_permlane16_swap_b32_e32 v80, v84                         // 000000008A88: 7EA0B354
	s_nop 1                                                    // 000000008A8C: BF800001
	v_and_b32_e64 v80, v80, s60                                // 000000008A90: D1130050 00007950
	v_lshlrev_b32_e32 v84, 16, v84                             // 000000008A98: 24A8A890
	v_or_b32_e32 v80, v80, v84                                 // 000000008A9C: 28A0A950
	v_mov_b32_e32 v84, v80                                     // 000000008AA0: 7EA80350
	s_nop 1                                                    // 000000008AA4: BF800001
	v_permlane32_swap_b32_e32 v80, v84                         // 000000008AA8: 7EA0B554
	s_nop 1                                                    // 000000008AAC: BF800001
	v_permlane16_swap_b32_e32 v80, v84                         // 000000008AB0: 7EA0B354
	s_nop 1                                                    // 000000008AB4: BF800001
	v_permlane32_swap_b32_e32 v80, v84                         // 000000008AB8: 7EA0B554
	s_nop 1                                                    // 000000008ABC: BF800001
	v_cvt_scalef32_pk_fp4_f32 v112, v112, v113, v48            // 000000008AC0: D23D0070 04C2E370
	v_cvt_scalef32_pk_fp4_f32 v112, v114, v115, v48 op_sel:[0,0,1,0]// 000000008AC8: D23D2070 04C2E772
	v_cvt_scalef32_pk_fp4_f32 v116, v116, v117, v48            // 000000008AD0: D23D0074 04C2EB74
	v_cvt_scalef32_pk_fp4_f32 v116, v118, v119, v48 op_sel:[0,0,1,0]// 000000008AD8: D23D2074 04C2EF76
	s_nop 1                                                    // 000000008AE0: BF800001
	v_permlane16_swap_b32_e32 v112, v116                       // 000000008AE4: 7EE0B374
	s_nop 1                                                    // 000000008AE8: BF800001
	v_and_b32_e64 v112, v112, s60                              // 000000008AEC: D1130070 00007970
	v_lshlrev_b32_e32 v116, 16, v116                           // 000000008AF4: 24E8E890
	v_or_b32_e32 v112, v112, v116                              // 000000008AF8: 28E0E970
	v_mov_b32_e32 v116, v112                                   // 000000008AFC: 7EE80370
	s_nop 1                                                    // 000000008B00: BF800001
	v_permlane32_swap_b32_e32 v112, v116                       // 000000008B04: 7EE0B574
	s_nop 1                                                    // 000000008B08: BF800001
	v_permlane16_swap_b32_e32 v112, v116                       // 000000008B0C: 7EE0B374
	s_nop 1                                                    // 000000008B10: BF800001
	v_permlane32_swap_b32_e32 v112, v116                       // 000000008B14: 7EE0B574
	s_nop 1                                                    // 000000008B18: BF800001
	v_mov_b32_e32 v49, 0x358637bd                              // 000000008B1C: 7E6202FF 358637BD
	v_mov_b32_e32 v50, 0x358637bd                              // 000000008B24: 7E6402FF 358637BD
	v_max3_f32 v49, |v88|, |v89|, v49                          // 000000008B2C: D1D30331 04C6B358
	v_max3_f32 v49, |v90|, |v91|, v49                          // 000000008B34: D1D30331 04C6B75A
	v_max3_f32 v49, |v92|, |v93|, v49                          // 000000008B3C: D1D30331 04C6BB5C
	v_max3_f32 v49, |v94|, |v95|, v49                          // 000000008B44: D1D30331 04C6BF5E
	v_max3_f32 v50, |v120|, |v121|, v50                        // 000000008B4C: D1D30332 04CAF378
	v_max3_f32 v50, |v122|, |v123|, v50                        // 000000008B54: D1D30332 04CAF77A
	v_max3_f32 v50, |v124|, |v125|, v50                        // 000000008B5C: D1D30332 04CAFB7C
	v_max3_f32 v50, |v126|, |v127|, v50                        // 000000008B64: D1D30332 04CAFF7E
	v_mov_b32_e32 v2, v49                                      // 000000008B6C: 7E040331
	s_nop 1                                                    // 000000008B70: BF800001
	v_permlane32_swap_b32_e32 v2, v49                          // 000000008B74: 7E04B531
	v_max_f32_e32 v49, v2, v49                                 // 000000008B78: 16626302
	v_mov_b32_e32 v2, v49                                      // 000000008B7C: 7E040331
	s_nop 1                                                    // 000000008B80: BF800001
	v_permlane16_swap_b32_e32 v2, v49                          // 000000008B84: 7E04B331
	v_max_f32_e32 v49, v2, v49                                 // 000000008B88: 16626302
	v_mov_b32_e32 v2, v50                                      // 000000008B8C: 7E040332
	s_nop 1                                                    // 000000008B90: BF800001
	v_permlane32_swap_b32_e32 v2, v50                          // 000000008B94: 7E04B532
	v_max_f32_e32 v50, v2, v50                                 // 000000008B98: 16646502
	v_mov_b32_e32 v2, v50                                      // 000000008B9C: 7E040332
	s_nop 1                                                    // 000000008BA0: BF800001
	v_permlane16_swap_b32_e32 v2, v50                          // 000000008BA4: 7E04B332
	v_max_f32_e32 v50, v2, v50                                 // 000000008BA8: 16646502
	v_mov_b32_e32 v2, 0x3e800000                               // 000000008BAC: 7E0402FF 3E800000
	v_mul_f32_e32 v49, v2, v49                                 // 000000008BB4: 0A626302
	v_mul_f32_e32 v50, v2, v50                                 // 000000008BB8: 0A646502
	v_mov_b32_e32 v1, 0x7fff0000                               // 000000008BBC: 7E0202FF 7FFF0000
	v_mov_b32_e32 v5, 0x7fbfffff                               // 000000008BC4: 7E0A02FF 7FBFFFFF
	v_bfe_u32 v2, v49, 22, 1                                   // 000000008BCC: D1C80002 02052D31
	v_and_b32_e32 v3, v49, v5                                  // 000000008BD4: 26060B31
	v_cmp_eq_u32_e64 s[60:61], v3, 0                           // 000000008BD8: D0CA003C 00010103
	v_cndmask_b32_e64 v4, 1, 0, s[60:61]                       // 000000008BE0: D1000004 00F10081
	v_and_b32_e32 v4, v4, v2                                   // 000000008BE8: 26080504
	v_bfe_u32 v5, v49, 23, 8                                   // 000000008BEC: D1C80005 02212F31
	v_add_u32_e32 v5, v5, v4                                   // 000000008BF4: 680A0905
	v_cmp_u_f32_e64 s[60:61], v49, v49                         // 000000008BF8: D048003C 00026331
	v_lshlrev_b32_e32 v49, 23, v5                              // 000000008C00: 24620A97
	v_cndmask_b32_e64 v49, v49, v1, s[60:61]                   // 000000008C04: D1000031 00F20331
	v_mov_b32_e32 v5, 0x7fbfffff                               // 000000008C0C: 7E0A02FF 7FBFFFFF
	v_bfe_u32 v2, v50, 22, 1                                   // 000000008C14: D1C80002 02052D32
	v_and_b32_e32 v3, v50, v5                                  // 000000008C1C: 26060B32
	v_cmp_eq_u32_e64 s[60:61], v3, 0                           // 000000008C20: D0CA003C 00010103
	v_cndmask_b32_e64 v4, 1, 0, s[60:61]                       // 000000008C28: D1000004 00F10081
	v_and_b32_e32 v4, v4, v2                                   // 000000008C30: 26080504
	v_bfe_u32 v5, v50, 23, 8                                   // 000000008C34: D1C80005 02212F32
	v_add_u32_e32 v5, v5, v4                                   // 000000008C3C: 680A0905
	v_cmp_u_f32_e64 s[60:61], v50, v50                         // 000000008C40: D048003C 00026532
	v_lshlrev_b32_e32 v50, 23, v5                              // 000000008C48: 24640A97
	v_cndmask_b32_e64 v50, v50, v1, s[60:61]                   // 000000008C4C: D1000032 00F20332
	s_mov_b32 s60, 0xffff                                      // 000000008C54: BEBC00FF 0000FFFF
	v_cvt_scalef32_pk_fp4_f32 v88, v88, v89, v49               // 000000008C5C: D23D0058 04C6B358
	v_cvt_scalef32_pk_fp4_f32 v88, v90, v91, v49 op_sel:[0,0,1,0]// 000000008C64: D23D2058 04C6B75A
	v_cvt_scalef32_pk_fp4_f32 v92, v92, v93, v49               // 000000008C6C: D23D005C 04C6BB5C
	v_cvt_scalef32_pk_fp4_f32 v92, v94, v95, v49 op_sel:[0,0,1,0]// 000000008C74: D23D205C 04C6BF5E
	s_nop 1                                                    // 000000008C7C: BF800001
	v_permlane16_swap_b32_e32 v88, v92                         // 000000008C80: 7EB0B35C
	s_nop 1                                                    // 000000008C84: BF800001
	v_and_b32_e64 v88, v88, s60                                // 000000008C88: D1130058 00007958
	v_lshlrev_b32_e32 v92, 16, v92                             // 000000008C90: 24B8B890
	v_or_b32_e32 v88, v88, v92                                 // 000000008C94: 28B0B958
	v_mov_b32_e32 v92, v88                                     // 000000008C98: 7EB80358
	s_nop 1                                                    // 000000008C9C: BF800001
	v_permlane32_swap_b32_e32 v88, v92                         // 000000008CA0: 7EB0B55C
	s_nop 1                                                    // 000000008CA4: BF800001
	v_permlane16_swap_b32_e32 v88, v92                         // 000000008CA8: 7EB0B35C
	s_nop 1                                                    // 000000008CAC: BF800001
	v_permlane32_swap_b32_e32 v88, v92                         // 000000008CB0: 7EB0B55C
	s_nop 1                                                    // 000000008CB4: BF800001
	v_cvt_scalef32_pk_fp4_f32 v120, v120, v121, v50            // 000000008CB8: D23D0078 04CAF378
	v_cvt_scalef32_pk_fp4_f32 v120, v122, v123, v50 op_sel:[0,0,1,0]// 000000008CC0: D23D2078 04CAF77A
	v_cvt_scalef32_pk_fp4_f32 v124, v124, v125, v50            // 000000008CC8: D23D007C 04CAFB7C
	v_cvt_scalef32_pk_fp4_f32 v124, v126, v127, v50 op_sel:[0,0,1,0]// 000000008CD0: D23D207C 04CAFF7E
	s_nop 1                                                    // 000000008CD8: BF800001
	v_permlane16_swap_b32_e32 v120, v124                       // 000000008CDC: 7EF0B37C
	s_nop 1                                                    // 000000008CE0: BF800001
	v_and_b32_e64 v120, v120, s60                              // 000000008CE4: D1130078 00007978
	v_lshlrev_b32_e32 v124, 16, v124                           // 000000008CEC: 24F8F890
	v_or_b32_e32 v120, v120, v124                              // 000000008CF0: 28F0F978
	v_mov_b32_e32 v124, v120                                   // 000000008CF4: 7EF80378
	s_nop 1                                                    // 000000008CF8: BF800001
	v_permlane32_swap_b32_e32 v120, v124                       // 000000008CFC: 7EF0B57C
	s_nop 1                                                    // 000000008D00: BF800001
	v_permlane16_swap_b32_e32 v120, v124                       // 000000008D04: 7EF0B37C
	s_nop 1                                                    // 000000008D08: BF800001
	v_permlane32_swap_b32_e32 v120, v124                       // 000000008D0C: 7EF0B57C
	s_nop 1                                                    // 000000008D10: BF800001
	v_lshrrev_b32_e32 v2, 5, v0                                // 000000008D14: 20040085
	v_lshlrev_b32_e32 v3, 6, v2                                // 000000008D18: 24060486
	v_and_b32_e32 v2, 31, v0                                   // 000000008D1C: 2604009F
	v_lshrrev_b32_e32 v4, 4, v2                                // 000000008D20: 20080484
	v_add_u32_e32 v3, v4, v3                                   // 000000008D24: 68060704
	v_and_b32_e32 v2, 15, v0                                   // 000000008D28: 2604008F
	v_lshlrev_b32_e32 v2, 1, v2                                // 000000008D2C: 24040481
	v_add_u32_e32 v3, v2, v3                                   // 000000008D30: 68060702
	v_lshlrev_b32_e32 v2, 2, v3                                // 000000008D34: 24040682
	s_mov_b32 s60, 0                                           // 000000008D38: BEBC0080
	s_lshr_b32 s61, s7, 1                                      // 000000008D3C: 8F3D8107
	s_mul_i32 s61, s61, 0x200                                  // 000000008D40: 923DFF3D 00000200
	s_add_u32 s60, s61, s60                                    // 000000008D48: 803C3C3D
	s_and_b32 s61, s7, 1                                       // 000000008D4C: 863D8107
	s_mul_i32 s61, s61, 0x80                                   // 000000008D50: 923DFF3D 00000080
	s_add_u32 s60, s61, s60                                    // 000000008D58: 803C3C3D
	v_add_u32_e64 v2, v2, s60                                  // 000000008D5C: D1340002 00007902
	ds_write_b32 v2, v64                                       // 000000008D64: D81A0000 00004002
	ds_write_b32 v2, v72 offset:1024                           // 000000008D6C: D81A0400 00004802
	ds_write_b32 v2, v80 offset:2048                           // 000000008D74: D81A0800 00005002
	ds_write_b32 v2, v88 offset:3072                           // 000000008D7C: D81A0C00 00005802
	ds_write_b32 v2, v96 offset:4096                           // 000000008D84: D81A1000 00006002
	ds_write_b32 v2, v104 offset:5120                          // 000000008D8C: D81A1400 00006802
	ds_write_b32 v2, v112 offset:6144                          // 000000008D94: D81A1800 00007002
	ds_write_b32 v2, v120 offset:7168                          // 000000008D9C: D81A1C00 00007802
	s_waitcnt lgkmcnt(0)                                       // 000000008DA4: BF8CC07F
	s_barrier                                                  // 000000008DA8: BF8A0000
	v_and_b32_e32 v2, 31, v0                                   // 000000008DAC: 2604009F
	v_lshrrev_b32_e32 v2, 4, v2                                // 000000008DB0: 20040484
	v_lshlrev_b32_e32 v3, 5, v2                                // 000000008DB4: 24060485
	v_lshrrev_b32_e32 v2, 5, v0                                // 000000008DB8: 20040085
	v_lshlrev_b32_e32 v2, 7, v2                                // 000000008DBC: 24040487
	v_add_u32_e32 v3, v2, v3                                   // 000000008DC0: 68060702
	v_and_b32_e32 v2, 15, v0                                   // 000000008DC4: 2604008F
	v_lshlrev_b32_e32 v2, 1, v2                                // 000000008DC8: 24040481
	v_add_u32_e32 v3, v2, v3                                   // 000000008DCC: 68060702
	v_lshlrev_b32_e32 v2, 2, v3                                // 000000008DD0: 24040682
	ds_read_b64 v[64:65], v2                                   // 000000008DD4: D8EC0000 40000002
	ds_read_b64 v[66:67], v2 offset:256                        // 000000008DDC: D8EC0100 42000002
	ds_read_b64 v[68:69], v2 offset:1024                       // 000000008DE4: D8EC0400 44000002
	ds_read_b64 v[70:71], v2 offset:1280                       // 000000008DEC: D8EC0500 46000002
	ds_read_b64 v[72:73], v2 offset:2048                       // 000000008DF4: D8EC0800 48000002
	ds_read_b64 v[74:75], v2 offset:2304                       // 000000008DFC: D8EC0900 4A000002
	ds_read_b64 v[76:77], v2 offset:3072                       // 000000008E04: D8EC0C00 4C000002
	ds_read_b64 v[78:79], v2 offset:3328                       // 000000008E0C: D8EC0D00 4E000002
	ds_read_b64 v[80:81], v2 offset:4096                       // 000000008E14: D8EC1000 50000002
	ds_read_b64 v[82:83], v2 offset:4352                       // 000000008E1C: D8EC1100 52000002
	ds_read_b64 v[84:85], v2 offset:5120                       // 000000008E24: D8EC1400 54000002
	ds_read_b64 v[86:87], v2 offset:5376                       // 000000008E2C: D8EC1500 56000002
	ds_read_b64 v[88:89], v2 offset:6144                       // 000000008E34: D8EC1800 58000002
	ds_read_b64 v[90:91], v2 offset:6400                       // 000000008E3C: D8EC1900 5A000002
	ds_read_b64 v[92:93], v2 offset:7168                       // 000000008E44: D8EC1C00 5C000002
	ds_read_b64 v[94:95], v2 offset:7424                       // 000000008E4C: D8EC1D00 5E000002
	s_waitcnt lgkmcnt(0)                                       // 000000008E54: BF8CC07F
	s_barrier                                                  // 000000008E58: BF8A0000
	v_lshrrev_b32_e32 v2, 5, v0                                // 000000008E5C: 20040085
	v_lshlrev_b32_e32 v3, 6, v2                                // 000000008E60: 24060486
	v_and_b32_e32 v2, 31, v0                                   // 000000008E64: 2604009F
	v_lshrrev_b32_e32 v4, 4, v2                                // 000000008E68: 20080484
	v_add_u32_e32 v3, v4, v3                                   // 000000008E6C: 68060704
	v_and_b32_e32 v2, 15, v0                                   // 000000008E70: 2604008F
	v_lshlrev_b32_e32 v2, 1, v2                                // 000000008E74: 24040481
	v_add_u32_e32 v3, v2, v3                                   // 000000008E78: 68060702
	v_lshlrev_b32_e32 v2, 2, v3                                // 000000008E7C: 24040682
	s_mov_b32 s60, 0                                           // 000000008E80: BEBC0080
	s_lshr_b32 s61, s7, 1                                      // 000000008E84: 8F3D8107
	s_mul_i32 s61, s61, 0x200                                  // 000000008E88: 923DFF3D 00000200
	s_add_u32 s60, s61, s60                                    // 000000008E90: 803C3C3D
	s_and_b32 s61, s7, 1                                       // 000000008E94: 863D8107
	s_mul_i32 s61, s61, 0x80                                   // 000000008E98: 923DFF3D 00000080
	s_add_u32 s60, s61, s60                                    // 000000008EA0: 803C3C3D
	v_add_u32_e64 v2, v2, s60                                  // 000000008EA4: D1340002 00007902
	ds_write_b32 v2, v43                                       // 000000008EAC: D81A0000 00002B02
	ds_write_b32 v2, v45 offset:1024                           // 000000008EB4: D81A0400 00002D02
	ds_write_b32 v2, v47 offset:2048                           // 000000008EBC: D81A0800 00002F02
	ds_write_b32 v2, v49 offset:3072                           // 000000008EC4: D81A0C00 00003102
	ds_write_b32 v2, v44 offset:4096                           // 000000008ECC: D81A1000 00002C02
	ds_write_b32 v2, v46 offset:5120                           // 000000008ED4: D81A1400 00002E02
	ds_write_b32 v2, v48 offset:6144                           // 000000008EDC: D81A1800 00003002
	ds_write_b32 v2, v50 offset:7168                           // 000000008EE4: D81A1C00 00003202
	s_waitcnt lgkmcnt(0)                                       // 000000008EEC: BF8CC07F
	s_barrier                                                  // 000000008EF0: BF8A0000
	v_and_b32_e32 v2, 31, v0                                   // 000000008EF4: 2604009F
	v_lshrrev_b32_e32 v2, 4, v2                                // 000000008EF8: 20040484
	v_lshlrev_b32_e32 v3, 5, v2                                // 000000008EFC: 24060485
	v_lshrrev_b32_e32 v2, 5, v0                                // 000000008F00: 20040085
	v_lshlrev_b32_e32 v2, 7, v2                                // 000000008F04: 24040487
	v_add_u32_e32 v3, v2, v3                                   // 000000008F08: 68060702
	v_and_b32_e32 v2, 15, v0                                   // 000000008F0C: 2604008F
	v_lshlrev_b32_e32 v2, 1, v2                                // 000000008F10: 24040481
	v_add_u32_e32 v3, v2, v3                                   // 000000008F14: 68060702
	v_lshlrev_b32_e32 v2, 2, v3                                // 000000008F18: 24040682
	ds_read_b32 v43, v2                                        // 000000008F1C: D86C0000 2B000002
	ds_read_b32 v45, v2 offset:1024                            // 000000008F24: D86C0400 2D000002
	ds_read_b32 v47, v2 offset:2048                            // 000000008F2C: D86C0800 2F000002
	ds_read_b32 v49, v2 offset:3072                            // 000000008F34: D86C0C00 31000002
	ds_read_b32 v44, v2 offset:4096                            // 000000008F3C: D86C1000 2C000002
	ds_read_b32 v46, v2 offset:5120                            // 000000008F44: D86C1400 2E000002
	ds_read_b32 v48, v2 offset:6144                            // 000000008F4C: D86C1800 30000002
	ds_read_b32 v50, v2 offset:7168                            // 000000008F54: D86C1C00 32000002
	s_waitcnt lgkmcnt(0)                                       // 000000008F5C: BF8CC07F
	s_barrier                                                  // 000000008F60: BF8A0000
	v_bfe_u32 v43, v43, 23, 8                                  // 000000008F64: D1C8002B 02212F2B
	v_bfe_u32 v44, v44, 23, 8                                  // 000000008F6C: D1C8002C 02212F2C
	v_bfe_u32 v45, v45, 23, 8                                  // 000000008F74: D1C8002D 02212F2D
	v_bfe_u32 v46, v46, 23, 8                                  // 000000008F7C: D1C8002E 02212F2E
	v_bfe_u32 v47, v47, 23, 8                                  // 000000008F84: D1C8002F 02212F2F
	v_bfe_u32 v48, v48, 23, 8                                  // 000000008F8C: D1C80030 02212F30
	v_bfe_u32 v49, v49, 23, 8                                  // 000000008F94: D1C80031 02212F31
	v_bfe_u32 v50, v50, 23, 8                                  // 000000008F9C: D1C80032 02212F32
	v_mov_b32_e32 v2, 0                                        // 000000008FA4: 7E040280
	v_lshlrev_b32_e32 v43, 0, v43                              // 000000008FA8: 24565680
	v_or_b32_e32 v2, v2, v43                                   // 000000008FAC: 28045702
	v_lshlrev_b32_e32 v44, 8, v44                              // 000000008FB0: 24585888
	v_or_b32_e32 v2, v2, v44                                   // 000000008FB4: 28045902
	v_lshlrev_b32_e32 v45, 16, v45                             // 000000008FB8: 245A5A90
	v_or_b32_e32 v2, v2, v45                                   // 000000008FBC: 28045B02
	v_lshlrev_b32_e32 v46, 24, v46                             // 000000008FC0: 245C5C98
	v_or_b32_e32 v2, v2, v46                                   // 000000008FC4: 28045D02
	v_mov_b32_e32 v43, v2                                      // 000000008FC8: 7E560302
	v_mov_b32_e32 v2, 0                                        // 000000008FCC: 7E040280
	v_lshlrev_b32_e32 v47, 0, v47                              // 000000008FD0: 245E5E80
	v_or_b32_e32 v2, v2, v47                                   // 000000008FD4: 28045F02
	v_lshlrev_b32_e32 v48, 8, v48                              // 000000008FD8: 24606088
	v_or_b32_e32 v2, v2, v48                                   // 000000008FDC: 28046102
	v_lshlrev_b32_e32 v49, 16, v49                             // 000000008FE0: 24626290
	v_or_b32_e32 v2, v2, v49                                   // 000000008FE4: 28046302
	v_lshlrev_b32_e32 v50, 24, v50                             // 000000008FE8: 24646498
	v_or_b32_e32 v2, v2, v50                                   // 000000008FEC: 28046502
	v_mov_b32_e32 v44, v2                                      // 000000008FF0: 7E580302
	s_add_u32 s12, s56, s12                                    // 000000008FF4: 800C0C38
	s_addc_u32 s13, 0, s13                                     // 000000008FF8: 820D0D80
	s_add_u32 s16, s79, s16                                    // 000000008FFC: 8010104F
	s_addc_u32 s17, 0, s17                                     // 000000009000: 82111180
	s_waitcnt lgkmcnt(0)                                       // 000000009004: BF8CC07F
	s_barrier                                                  // 000000009008: BF8A0000
	v_mov_b32_e32 v160, 0                                      // 00000000900C: 7F400280
	v_mov_b32_e32 v192, 0                                      // 000000009010: 7F800280
	v_mov_b32_e32 v161, 0                                      // 000000009014: 7F420280
	v_mov_b32_e32 v193, 0                                      // 000000009018: 7F820280
	v_mov_b32_e32 v162, 0                                      // 00000000901C: 7F440280
	v_mov_b32_e32 v194, 0                                      // 000000009020: 7F840280
	v_mov_b32_e32 v163, 0                                      // 000000009024: 7F460280
	v_mov_b32_e32 v195, 0                                      // 000000009028: 7F860280
	v_mov_b32_e32 v164, 0                                      // 00000000902C: 7F480280
	v_mov_b32_e32 v196, 0                                      // 000000009030: 7F880280
	v_mov_b32_e32 v165, 0                                      // 000000009034: 7F4A0280
	v_mov_b32_e32 v197, 0                                      // 000000009038: 7F8A0280
	v_mov_b32_e32 v166, 0                                      // 00000000903C: 7F4C0280
	v_mov_b32_e32 v198, 0                                      // 000000009040: 7F8C0280
	v_mov_b32_e32 v167, 0                                      // 000000009044: 7F4E0280
	v_mov_b32_e32 v199, 0                                      // 000000009048: 7F8E0280
	v_mov_b32_e32 v168, 0                                      // 00000000904C: 7F500280
	v_mov_b32_e32 v200, 0                                      // 000000009050: 7F900280
	v_mov_b32_e32 v169, 0                                      // 000000009054: 7F520280
	v_mov_b32_e32 v201, 0                                      // 000000009058: 7F920280
	v_mov_b32_e32 v170, 0                                      // 00000000905C: 7F540280
	v_mov_b32_e32 v202, 0                                      // 000000009060: 7F940280
	v_mov_b32_e32 v171, 0                                      // 000000009064: 7F560280
	v_mov_b32_e32 v203, 0                                      // 000000009068: 7F960280
	v_mov_b32_e32 v172, 0                                      // 00000000906C: 7F580280
	v_mov_b32_e32 v204, 0                                      // 000000009070: 7F980280
	v_mov_b32_e32 v173, 0                                      // 000000009074: 7F5A0280
	v_mov_b32_e32 v205, 0                                      // 000000009078: 7F9A0280
	v_mov_b32_e32 v174, 0                                      // 00000000907C: 7F5C0280
	v_mov_b32_e32 v206, 0                                      // 000000009080: 7F9C0280
	v_mov_b32_e32 v175, 0                                      // 000000009084: 7F5E0280
	v_mov_b32_e32 v207, 0                                      // 000000009088: 7F9E0280
	ds_write_b64 v8, v[160:161]                                // 00000000908C: D89A0000 0000A008
	ds_write_b64 v8, v[162:163] offset:8704                    // 000000009094: D89A2200 0000A208
	ds_write_b64 v8, v[164:165] offset:544                     // 00000000909C: D89A0220 0000A408
	ds_write_b64 v8, v[166:167] offset:9248                    // 0000000090A4: D89A2420 0000A608
	ds_write_b64 v8, v[168:169] offset:4352                    // 0000000090AC: D89A1100 0000A808
	ds_write_b64 v8, v[170:171] offset:13056                   // 0000000090B4: D89A3300 0000AA08
	ds_write_b64 v8, v[172:173] offset:4896                    // 0000000090BC: D89A1320 0000AC08
	ds_write_b64 v8, v[174:175] offset:13600                   // 0000000090C4: D89A3520 0000AE08
	s_mov_b32 s80, 0                                           // 0000000090CC: BED00080
	s_waitcnt vmcnt(0) expcnt(0) lgkmcnt(0)                    // 0000000090D0: BF8C0000

00000000000090d4 <label_18B5>:
	s_waitcnt vmcnt(30) lgkmcnt(0)                             // 0000000090D4: BF8C407E
	s_barrier                                                  // 0000000090D8: BF8A0000
	v_mfma_scale_f32_16x16x128_f8f6f4 v[160:163], a[0:3], v[64:67], 0, v25, v43 op_sel_hi:[0,0,0] cbsz:4 blgp:4// 0000000090DC: D3AC6000 00025719 D3AD0CA0 8A028100
	buffer_load_dwordx4 a[64:67], v60, s[12:15], 0 offen       // 0000000090EC: E05C1000 8083403C
	v_mfma_scale_f32_16x16x128_f8f6f4 v[164:167], a[0:3], v[80:83], 0, v25, v43 op_sel_hi:[0,0,0] cbsz:4 blgp:4// 0000000090F4: D3AC7000 00025719 D3AD0CA4 8A02A100
	ds_read_b32 v128, v9                                       // 000000009104: D86C0000 80000009
	ds_read_b32 v129, v9 offset:4352                           // 00000000910C: D86C1100 81000009
	ds_read_b32 v130, v9 offset:8                              // 000000009114: D86C0008 82000009
	ds_read_b32 v131, v9 offset:4360                           // 00000000911C: D86C1108 83000009
	v_mfma_scale_f32_16x16x128_f8f6f4 v[168:171], a[4:7], v[64:67], 0, v25, v43 op_sel_hi:[0,0,0] cbsz:4 blgp:4// 000000009124: D3AC6800 00025719 D3AD0CA8 8A028104
	buffer_load_dwordx4 a[68:71], v61, s[12:15], 0 offen       // 000000009134: E05C1000 8083443D
	buffer_load_dword v29, v10, s[16:19], 0 offen              // 00000000913C: E0501000 80041D0A
	buffer_load_dword v30, v11, s[16:19], 0 offen              // 000000009144: E0501000 80041E0B
	buffer_load_dword v31, v10, s[16:19], 0 offen offset:256   // 00000000914C: E0501100 80041F0A
	buffer_load_dword v32, v11, s[16:19], 0 offen offset:256   // 000000009154: E0501100 8004200B
	v_mfma_scale_f32_16x16x128_f8f6f4 v[172:175], a[4:7], v[80:83], 0, v25, v43 op_sel_hi:[0,0,0] cbsz:4 blgp:4// 00000000915C: D3AC7800 00025719 D3AD0CAC 8A02A104
	ds_read_b32 v132, v9 offset:32                             // 00000000916C: D86C0020 84000009
	ds_read_b32 v133, v9 offset:4384                           // 000000009174: D86C1120 85000009
	ds_read_b32 v134, v9 offset:40                             // 00000000917C: D86C0028 86000009
	ds_read_b32 v135, v9 offset:4392                           // 000000009184: D86C1128 87000009
	s_waitcnt vmcnt(34)                                        // 00000000918C: BF8C8F72
	v_mfma_scale_f32_16x16x128_f8f6f4 v[176:179], a[8:11], v[64:67], 0, v26, v43 op_sel_hi:[0,0,0] cbsz:4 blgp:4// 000000009190: D3AC6000 0002571A D3AD0CB0 8A028108
	buffer_load_dwordx4 a[72:75], v62, s[12:15], 0 offen       // 0000000091A0: E05C1000 8083483E
	v_mfma_scale_f32_16x16x128_f8f6f4 v[180:183], a[8:11], v[80:83], 0, v26, v43 op_sel_hi:[0,0,0] cbsz:4 blgp:4// 0000000091A8: D3AC7000 0002571A D3AD0CB4 8A02A108
	ds_read_b32 v136, v9 offset:8704                           // 0000000091B8: D86C2200 88000009
	ds_read_b32 v137, v9 offset:13056                          // 0000000091C0: D86C3300 89000009
	ds_read_b32 v138, v9 offset:8712                           // 0000000091C8: D86C2208 8A000009
	ds_read_b32 v139, v9 offset:13064                          // 0000000091D0: D86C3308 8B000009
	v_mfma_scale_f32_16x16x128_f8f6f4 v[184:187], a[12:15], v[64:67], 0, v26, v43 op_sel_hi:[0,0,0] cbsz:4 blgp:4// 0000000091D8: D3AC6800 0002571A D3AD0CB8 8A02810C
	buffer_load_dwordx4 a[76:79], v63, s[12:15], 0 offen       // 0000000091E8: E05C1000 80834C3F
	buffer_load_dword v31, v10, s[16:19], 0 offen offset:256   // 0000000091F0: E0501100 80041F0A
	buffer_load_dword v32, v11, s[16:19], 0 offen offset:256   // 0000000091F8: E0501100 8004200B
	v_mfma_scale_f32_16x16x128_f8f6f4 v[188:191], a[12:15], v[80:83], 0, v26, v43 op_sel_hi:[0,0,0] cbsz:4 blgp:4// 000000009200: D3AC7800 0002571A D3AD0CBC 8A02A10C
	ds_read_b32 v140, v9 offset:8736                           // 000000009210: D86C2220 8C000009
	ds_read_b32 v141, v9 offset:13088                          // 000000009218: D86C3320 8D000009
	ds_read_b32 v142, v9 offset:8744                           // 000000009220: D86C2228 8E000009
	ds_read_b32 v143, v9 offset:13096                          // 000000009228: D86C3328 8F000009
	s_waitcnt vmcnt(34)                                        // 000000009230: BF8C8F72
	v_mfma_scale_f32_16x16x128_f8f6f4 v[160:163], a[16:19], v[68:71], v[160:163], v25, v43 op_sel_hi:[0,0,0] cbsz:4 blgp:4// 000000009234: D3AC6000 18025719 D3AD0CA0 8E828910
	buffer_load_dwordx4 a[80:83], v60, s[12:15], 0 offen offset:1024// 000000009244: E05C1400 8083503C
	v_mfma_scale_f32_16x16x128_f8f6f4 v[164:167], a[16:19], v[84:87], v[164:167], v25, v43 op_sel_hi:[0,0,0] cbsz:4 blgp:4// 00000000924C: D3AC7000 18025719 D3AD0CA4 8E92A910
	ds_write_b64 v8, v[192:193] offset:17408                   // 00000000925C: D89A4400 0000C008
	ds_write_b64 v8, v[194:195] offset:26112                   // 000000009264: D89A6600 0000C208
	v_mfma_scale_f32_16x16x128_f8f6f4 v[168:171], a[20:23], v[68:71], v[168:171], v25, v43 op_sel_hi:[0,0,0] cbsz:4 blgp:4// 00000000926C: D3AC6800 18025719 D3AD0CA8 8EA28914
	buffer_load_dwordx4 a[84:87], v61, s[12:15], 0 offen offset:1024// 00000000927C: E05C1400 8083543D
	v_mfma_scale_f32_16x16x128_f8f6f4 v[172:175], a[20:23], v[84:87], v[172:175], v25, v43 op_sel_hi:[0,0,0] cbsz:4 blgp:4// 000000009284: D3AC7800 18025719 D3AD0CAC 8EB2A914
	ds_write_b64 v8, v[196:197] offset:17952                   // 000000009294: D89A4620 0000C408
	ds_write_b64 v8, v[198:199] offset:26656                   // 00000000929C: D89A6820 0000C608
	s_waitcnt vmcnt(34)                                        // 0000000092A4: BF8C8F72
	v_mfma_scale_f32_16x16x128_f8f6f4 v[176:179], a[24:27], v[68:71], v[176:179], v26, v43 op_sel_hi:[0,0,0] cbsz:4 blgp:4// 0000000092A8: D3AC6000 1802571A D3AD0CB0 8EC28918
	buffer_load_dwordx4 a[88:91], v62, s[12:15], 0 offen offset:1024// 0000000092B8: E05C1400 8083583E
	v_mfma_scale_f32_16x16x128_f8f6f4 v[180:183], a[24:27], v[84:87], v[180:183], v26, v43 op_sel_hi:[0,0,0] cbsz:4 blgp:4// 0000000092C0: D3AC7000 1802571A D3AD0CB4 8ED2A918
	ds_write_b64 v8, v[200:201] offset:21760                   // 0000000092D0: D89A5500 0000C808
	ds_write_b64 v8, v[202:203] offset:30464                   // 0000000092D8: D89A7700 0000CA08
	v_mfma_scale_f32_16x16x128_f8f6f4 v[184:187], a[28:31], v[68:71], v[184:187], v26, v43 op_sel_hi:[0,0,0] cbsz:4 blgp:4// 0000000092E0: D3AC6800 1802571A D3AD0CB8 8EE2891C
	buffer_load_dwordx4 a[92:95], v63, s[12:15], 0 offen offset:1024// 0000000092F0: E05C1400 80835C3F
	v_mfma_scale_f32_16x16x128_f8f6f4 v[188:191], a[28:31], v[84:87], v[188:191], v26, v43 op_sel_hi:[0,0,0] cbsz:4 blgp:4// 0000000092F8: D3AC7800 1802571A D3AD0CBC 8EF2A91C
	ds_write_b64 v8, v[204:205] offset:22304                   // 000000009308: D89A5720 0000CC08
	ds_write_b64 v8, v[206:207] offset:31008                   // 000000009310: D89A7920 0000CE08
	s_waitcnt vmcnt(34)                                        // 000000009318: BF8C8F72
	v_mfma_scale_f32_16x16x128_f8f6f4 v[160:163], a[32:35], v[72:75], v[160:163], v27, v44 op_sel_hi:[0,0,0] cbsz:4 blgp:4// 00000000931C: D3AC6000 0002591B D3AD0CA0 8E829120
	buffer_load_dwordx4 a[96:99], v60, s[12:15], 0 offen offset:2048// 00000000932C: E05C1800 8083603C
	v_mfma_scale_f32_16x16x128_f8f6f4 v[164:167], a[32:35], v[88:91], v[164:167], v27, v44 op_sel_hi:[0,0,0] cbsz:4 blgp:4// 000000009334: D3AC7000 0002591B D3AD0CA4 8E92B120
	v_mfma_scale_f32_16x16x128_f8f6f4 v[168:171], a[36:39], v[72:75], v[168:171], v27, v44 op_sel_hi:[0,0,0] cbsz:4 blgp:4// 000000009344: D3AC6800 0002591B D3AD0CA8 8EA29124
	buffer_load_dwordx4 a[100:103], v61, s[12:15], 0 offen offset:2048// 000000009354: E05C1800 8083643D
	v_mfma_scale_f32_16x16x128_f8f6f4 v[172:175], a[36:39], v[88:91], v[172:175], v27, v44 op_sel_hi:[0,0,0] cbsz:4 blgp:4// 00000000935C: D3AC7800 0002591B D3AD0CAC 8EB2B124
	s_waitcnt vmcnt(34)                                        // 00000000936C: BF8C8F72
	v_mfma_scale_f32_16x16x128_f8f6f4 v[176:179], a[40:43], v[72:75], v[176:179], v28, v44 op_sel_hi:[0,0,0] cbsz:4 blgp:4// 000000009370: D3AC6000 0002591C D3AD0CB0 8EC29128
	buffer_load_dwordx4 a[104:107], v62, s[12:15], 0 offen offset:2048// 000000009380: E05C1800 8083683E
	v_mfma_scale_f32_16x16x128_f8f6f4 v[180:183], a[40:43], v[88:91], v[180:183], v28, v44 op_sel_hi:[0,0,0] cbsz:4 blgp:4// 000000009388: D3AC7000 0002591C D3AD0CB4 8ED2B128
	v_mfma_scale_f32_16x16x128_f8f6f4 v[184:187], a[44:47], v[72:75], v[184:187], v28, v44 op_sel_hi:[0,0,0] cbsz:4 blgp:4// 000000009398: D3AC6800 0002591C D3AD0CB8 8EE2912C
	buffer_load_dwordx4 a[108:111], v63, s[12:15], 0 offen offset:2048// 0000000093A8: E05C1800 80836C3F
	v_mfma_scale_f32_16x16x128_f8f6f4 v[188:191], a[44:47], v[88:91], v[188:191], v28, v44 op_sel_hi:[0,0,0] cbsz:4 blgp:4// 0000000093B0: D3AC7800 0002591C D3AD0CBC 8EF2B12C
	s_waitcnt vmcnt(34)                                        // 0000000093C0: BF8C8F72
	v_mfma_scale_f32_16x16x128_f8f6f4 v[160:163], a[48:51], v[76:79], v[160:163], v27, v44 op_sel_hi:[0,0,0] cbsz:4 blgp:4// 0000000093C4: D3AC6000 1802591B D3AD0CA0 8E829930
	buffer_load_dwordx4 a[112:115], v60, s[12:15], 0 offen offset:3072// 0000000093D4: E05C1C00 8083703C
	v_mfma_scale_f32_16x16x128_f8f6f4 v[164:167], a[48:51], v[92:95], v[164:167], v27, v44 op_sel_hi:[0,0,0] cbsz:4 blgp:4// 0000000093DC: D3AC7000 1802591B D3AD0CA4 8E92B930
	v_mfma_scale_f32_16x16x128_f8f6f4 v[168:171], a[52:55], v[76:79], v[168:171], v27, v44 op_sel_hi:[0,0,0] cbsz:4 blgp:4// 0000000093EC: D3AC6800 1802591B D3AD0CA8 8EA29934
	buffer_load_dwordx4 a[116:119], v61, s[12:15], 0 offen offset:3072// 0000000093FC: E05C1C00 8083743D
	v_mfma_scale_f32_16x16x128_f8f6f4 v[172:175], a[52:55], v[92:95], v[172:175], v27, v44 op_sel_hi:[0,0,0] cbsz:4 blgp:4// 000000009404: D3AC7800 1802591B D3AD0CAC 8EB2B934
	s_waitcnt vmcnt(34)                                        // 000000009414: BF8C8F72
	v_mfma_scale_f32_16x16x128_f8f6f4 v[176:179], a[56:59], v[76:79], v[176:179], v28, v44 op_sel_hi:[0,0,0] cbsz:4 blgp:4// 000000009418: D3AC6000 1802591C D3AD0CB0 8EC29938
	buffer_load_dwordx4 a[120:123], v62, s[12:15], 0 offen offset:3072// 000000009428: E05C1C00 8083783E
	v_mfma_scale_f32_16x16x128_f8f6f4 v[180:183], a[56:59], v[92:95], v[180:183], v28, v44 op_sel_hi:[0,0,0] cbsz:4 blgp:4// 000000009430: D3AC7000 1802591C D3AD0CB4 8ED2B938
	v_mfma_scale_f32_16x16x128_f8f6f4 v[184:187], a[60:63], v[76:79], v[184:187], v28, v44 op_sel_hi:[0,0,0] cbsz:4 blgp:4// 000000009440: D3AC6800 1802591C D3AD0CB8 8EE2993C
	buffer_load_dwordx4 a[124:127], v63, s[12:15], 0 offen offset:3072// 000000009450: E05C1C00 80837C3F
	v_mfma_scale_f32_16x16x128_f8f6f4 v[188:191], a[60:63], v[92:95], v[188:191], v28, v44 op_sel_hi:[0,0,0] cbsz:4 blgp:4// 000000009458: D3AC7800 1802591C D3AD0CBC 8EF2B93C
	s_add_u32 s60, 0x200, s80                                  // 000000009468: 803C50FF 00000200
	s_cmp_lt_u32 s60, s81                                      // 000000009470: BF0A513C
	s_cselect_b32 s56, s56, 0                                  // 000000009474: 85388038
	s_cselect_b32 s78, s78, 0                                  // 000000009478: 854E804E
	s_cselect_b32 s79, s79, 0                                  // 00000000947C: 854F804F
	s_add_u32 s12, s56, s12                                    // 000000009480: 800C0C38
	s_addc_u32 s13, 0, s13                                     // 000000009484: 820D0D80
	s_add_u32 s16, s79, s16                                    // 000000009488: 8010104F
	s_addc_u32 s17, 0, s17                                     // 00000000948C: 82111180
	v_mov_b32_e32 v2, v41                                      // 000000009490: 7E040329
	v_mov_b32_e32 v3, v41                                      // 000000009494: 7E060329
	v_pk_mul_f32 v[160:161], v[2:3], v[160:161]                // 000000009498: D3B140A0 18034102
	v_pk_mul_f32 v[162:163], v[2:3], v[162:163]                // 0000000094A0: D3B140A2 18034502
	v_pk_mul_f32 v[168:169], v[2:3], v[168:169]                // 0000000094A8: D3B140A8 18035102
	v_pk_mul_f32 v[170:171], v[2:3], v[170:171]                // 0000000094B0: D3B140AA 18035502
	v_pk_mul_f32 v[176:177], v[2:3], v[176:177]                // 0000000094B8: D3B140B0 18036102
	v_pk_mul_f32 v[178:179], v[2:3], v[178:179]                // 0000000094C0: D3B140B2 18036502
	v_pk_mul_f32 v[184:185], v[2:3], v[184:185]                // 0000000094C8: D3B140B8 18037102
	v_pk_mul_f32 v[186:187], v[2:3], v[186:187]                // 0000000094D0: D3B140BA 18037502
	v_mov_b32_e32 v2, v42                                      // 0000000094D8: 7E04032A
	v_mov_b32_e32 v3, v42                                      // 0000000094DC: 7E06032A
	v_pk_mul_f32 v[164:165], v[2:3], v[164:165]                // 0000000094E0: D3B140A4 18034902
	v_pk_mul_f32 v[166:167], v[2:3], v[166:167]                // 0000000094E8: D3B140A6 18034D02
	v_pk_mul_f32 v[172:173], v[2:3], v[172:173]                // 0000000094F0: D3B140AC 18035902
	v_pk_mul_f32 v[174:175], v[2:3], v[174:175]                // 0000000094F8: D3B140AE 18035D02
	v_pk_mul_f32 v[180:181], v[2:3], v[180:181]                // 000000009500: D3B140B4 18036902
	v_pk_mul_f32 v[182:183], v[2:3], v[182:183]                // 000000009508: D3B140B6 18036D02
	v_pk_mul_f32 v[188:189], v[2:3], v[188:189]                // 000000009510: D3B140BC 18037902
	v_pk_mul_f32 v[190:191], v[2:3], v[190:191]                // 000000009518: D3B140BE 18037D02
	v_cvt_pkrtz_f16_f32 v160, v160, v161                       // 000000009520: D29600A0 000343A0
	v_cvt_pkrtz_f16_f32 v161, v162, v163                       // 000000009528: D29600A1 000347A2
	v_cvt_pkrtz_f16_f32 v162, v164, v165                       // 000000009530: D29600A2 00034BA4
	v_cvt_pkrtz_f16_f32 v163, v166, v167                       // 000000009538: D29600A3 00034FA6
	v_cvt_pkrtz_f16_f32 v164, v168, v169                       // 000000009540: D29600A4 000353A8
	v_cvt_pkrtz_f16_f32 v165, v170, v171                       // 000000009548: D29600A5 000357AA
	v_cvt_pkrtz_f16_f32 v166, v172, v173                       // 000000009550: D29600A6 00035BAC
	v_cvt_pkrtz_f16_f32 v167, v174, v175                       // 000000009558: D29600A7 00035FAE
	v_cvt_pkrtz_f16_f32 v168, v176, v177                       // 000000009560: D29600A8 000363B0
	v_cvt_pkrtz_f16_f32 v169, v178, v179                       // 000000009568: D29600A9 000367B2
	v_cvt_pkrtz_f16_f32 v170, v180, v181                       // 000000009570: D29600AA 00036BB4
	v_cvt_pkrtz_f16_f32 v171, v182, v183                       // 000000009578: D29600AB 00036FB6
	v_cvt_pkrtz_f16_f32 v172, v184, v185                       // 000000009580: D29600AC 000373B8
	v_cvt_pkrtz_f16_f32 v173, v186, v187                       // 000000009588: D29600AD 000377BA
	v_cvt_pkrtz_f16_f32 v174, v188, v189                       // 000000009590: D29600AE 00037BBC
	v_cvt_pkrtz_f16_f32 v175, v190, v191                       // 000000009598: D29600AF 00037FBE
	s_cmp_ge_u32 s80, 0x200                                    // 0000000095A0: BF09FF50 00000200
	s_cselect_b32 s59, 0x200, s59                              // 0000000095A8: 853B3BFF 00000200
	s_mov_b64 exec, s[20:21]                                   // 0000000095B0: BEFE0114
	global_atomic_pk_add_f16 v144, v128, s[8:9]                // 0000000095B4: DD388000 00088090
	s_mov_b64 exec, s[36:37]                                   // 0000000095BC: BEFE0124
	s_mov_b64 exec, s[20:21]                                   // 0000000095C0: BEFE0114
	global_atomic_pk_add_f16 v144, v129, s[8:9] offset:256     // 0000000095C4: DD388100 00088190
	s_mov_b64 exec, s[36:37]                                   // 0000000095CC: BEFE0124
	s_mov_b64 exec, s[22:23]                                   // 0000000095D0: BEFE0116
	global_atomic_pk_add_f16 v146, v130, s[8:9]                // 0000000095D4: DD388000 00088292
	s_mov_b64 exec, s[36:37]                                   // 0000000095DC: BEFE0124
	s_mov_b64 exec, s[22:23]                                   // 0000000095E0: BEFE0116
	global_atomic_pk_add_f16 v146, v131, s[8:9] offset:256     // 0000000095E4: DD388100 00088392
	s_mov_b64 exec, s[36:37]                                   // 0000000095EC: BEFE0124
	s_mov_b64 exec, s[24:25]                                   // 0000000095F0: BEFE0118
	global_atomic_pk_add_f16 v148, v132, s[8:9]                // 0000000095F4: DD388000 00088494
	s_mov_b64 exec, s[36:37]                                   // 0000000095FC: BEFE0124
	s_mov_b64 exec, s[24:25]                                   // 000000009600: BEFE0118
	global_atomic_pk_add_f16 v148, v133, s[8:9] offset:256     // 000000009604: DD388100 00088594
	s_mov_b64 exec, s[36:37]                                   // 00000000960C: BEFE0124
	s_mov_b64 exec, s[26:27]                                   // 000000009610: BEFE011A
	global_atomic_pk_add_f16 v150, v134, s[8:9]                // 000000009614: DD388000 00088696
	s_mov_b64 exec, s[36:37]                                   // 00000000961C: BEFE0124
	s_mov_b64 exec, s[26:27]                                   // 000000009620: BEFE011A
	global_atomic_pk_add_f16 v150, v135, s[8:9] offset:256     // 000000009624: DD388100 00088796
	s_mov_b64 exec, s[36:37]                                   // 00000000962C: BEFE0124
	s_mov_b64 exec, s[28:29]                                   // 000000009630: BEFE011C
	global_atomic_pk_add_f16 v152, v136, s[8:9]                // 000000009634: DD388000 00088898
	s_mov_b64 exec, s[36:37]                                   // 00000000963C: BEFE0124
	s_mov_b64 exec, s[28:29]                                   // 000000009640: BEFE011C
	global_atomic_pk_add_f16 v152, v137, s[8:9] offset:256     // 000000009644: DD388100 00088998
	s_mov_b64 exec, s[36:37]                                   // 00000000964C: BEFE0124
	s_mov_b64 exec, s[30:31]                                   // 000000009650: BEFE011E
	global_atomic_pk_add_f16 v154, v138, s[8:9]                // 000000009654: DD388000 00088A9A
	s_mov_b64 exec, s[36:37]                                   // 00000000965C: BEFE0124
	s_mov_b64 exec, s[30:31]                                   // 000000009660: BEFE011E
	global_atomic_pk_add_f16 v154, v139, s[8:9] offset:256     // 000000009664: DD388100 00088B9A
	s_mov_b64 exec, s[36:37]                                   // 00000000966C: BEFE0124
	s_mov_b64 exec, s[32:33]                                   // 000000009670: BEFE0120
	global_atomic_pk_add_f16 v156, v140, s[8:9]                // 000000009674: DD388000 00088C9C
	s_mov_b64 exec, s[36:37]                                   // 00000000967C: BEFE0124
	s_mov_b64 exec, s[32:33]                                   // 000000009680: BEFE0120
	global_atomic_pk_add_f16 v156, v141, s[8:9] offset:256     // 000000009684: DD388100 00088D9C
	s_mov_b64 exec, s[36:37]                                   // 00000000968C: BEFE0124
	s_mov_b64 exec, s[34:35]                                   // 000000009690: BEFE0122
	global_atomic_pk_add_f16 v158, v142, s[8:9]                // 000000009694: DD388000 00088E9E
	s_mov_b64 exec, s[36:37]                                   // 00000000969C: BEFE0124
	s_mov_b64 exec, s[34:35]                                   // 0000000096A0: BEFE0122
	global_atomic_pk_add_f16 v158, v143, s[8:9] offset:256     // 0000000096A4: DD388100 00088F9E
	s_mov_b64 exec, s[36:37]                                   // 0000000096AC: BEFE0124
	s_add_u32 s8, s59, s8                                      // 0000000096B0: 8008083B
	s_addc_u32 s9, 0, s9                                       // 0000000096B4: 82090980
	s_addk_i32 s80, 0x100                                      // 0000000096B8: B7500100
	s_cmp_lt_i32 s80, s81                                      // 0000000096BC: BF045150
	s_cbranch_scc0 label_0F47                                  // 0000000096C0: BF84F516
	s_waitcnt vmcnt(30) lgkmcnt(0)                             // 0000000096C4: BF8C407E
	s_barrier                                                  // 0000000096C8: BF8A0000
	v_mfma_scale_f32_16x16x128_f8f6f4 v[192:195], a[64:67], v[64:67], 0, v29, v43 op_sel_hi:[0,0,0] cbsz:4 blgp:4// 0000000096CC: D3AC6000 0002571D D3AD0CC0 8A028140
	buffer_load_dwordx4 a[0:3], v60, s[12:15], 0 offen         // 0000000096DC: E05C1000 8083003C
	v_mfma_scale_f32_16x16x128_f8f6f4 v[196:199], a[64:67], v[80:83], 0, v29, v43 op_sel_hi:[0,0,0] cbsz:4 blgp:4// 0000000096E4: D3AC7000 0002571D D3AD0CC4 8A02A140
	ds_read_b32 v128, v9 offset:17408                          // 0000000096F4: D86C4400 80000009
	ds_read_b32 v129, v9 offset:21760                          // 0000000096FC: D86C5500 81000009
	ds_read_b32 v130, v9 offset:17416                          // 000000009704: D86C4408 82000009
	ds_read_b32 v131, v9 offset:21768                          // 00000000970C: D86C5508 83000009
	v_mfma_scale_f32_16x16x128_f8f6f4 v[200:203], a[68:71], v[64:67], 0, v29, v43 op_sel_hi:[0,0,0] cbsz:4 blgp:4// 000000009714: D3AC6800 0002571D D3AD0CC8 8A028144
	buffer_load_dwordx4 a[4:7], v61, s[12:15], 0 offen         // 000000009724: E05C1000 8083043D
	buffer_load_dword v25, v10, s[16:19], 0 offen              // 00000000972C: E0501000 8004190A
	buffer_load_dword v26, v11, s[16:19], 0 offen              // 000000009734: E0501000 80041A0B
	buffer_load_dword v27, v10, s[16:19], 0 offen offset:256   // 00000000973C: E0501100 80041B0A
	buffer_load_dword v28, v11, s[16:19], 0 offen offset:256   // 000000009744: E0501100 80041C0B
	v_mfma_scale_f32_16x16x128_f8f6f4 v[204:207], a[68:71], v[80:83], 0, v29, v43 op_sel_hi:[0,0,0] cbsz:4 blgp:4// 00000000974C: D3AC7800 0002571D D3AD0CCC 8A02A144
	ds_read_b32 v132, v9 offset:17440                          // 00000000975C: D86C4420 84000009
	ds_read_b32 v133, v9 offset:21792                          // 000000009764: D86C5520 85000009
	ds_read_b32 v134, v9 offset:17448                          // 00000000976C: D86C4428 86000009
	ds_read_b32 v135, v9 offset:21800                          // 000000009774: D86C5528 87000009
	s_waitcnt vmcnt(34)                                        // 00000000977C: BF8C8F72
	v_mfma_scale_f32_16x16x128_f8f6f4 v[208:211], a[72:75], v[64:67], 0, v30, v43 op_sel_hi:[0,0,0] cbsz:4 blgp:4// 000000009780: D3AC6000 0002571E D3AD0CD0 8A028148
	buffer_load_dwordx4 a[8:11], v62, s[12:15], 0 offen        // 000000009790: E05C1000 8083083E
	v_mfma_scale_f32_16x16x128_f8f6f4 v[212:215], a[72:75], v[80:83], 0, v30, v43 op_sel_hi:[0,0,0] cbsz:4 blgp:4// 000000009798: D3AC7000 0002571E D3AD0CD4 8A02A148
	ds_read_b32 v136, v9 offset:26112                          // 0000000097A8: D86C6600 88000009
	ds_read_b32 v137, v9 offset:30464                          // 0000000097B0: D86C7700 89000009
	ds_read_b32 v138, v9 offset:26120                          // 0000000097B8: D86C6608 8A000009
	ds_read_b32 v139, v9 offset:30472                          // 0000000097C0: D86C7708 8B000009
	v_mfma_scale_f32_16x16x128_f8f6f4 v[216:219], a[76:79], v[64:67], 0, v30, v43 op_sel_hi:[0,0,0] cbsz:4 blgp:4// 0000000097C8: D3AC6800 0002571E D3AD0CD8 8A02814C
	buffer_load_dwordx4 a[12:15], v63, s[12:15], 0 offen       // 0000000097D8: E05C1000 80830C3F
	buffer_load_dword v27, v10, s[16:19], 0 offen offset:256   // 0000000097E0: E0501100 80041B0A
	buffer_load_dword v28, v11, s[16:19], 0 offen offset:256   // 0000000097E8: E0501100 80041C0B
	v_mfma_scale_f32_16x16x128_f8f6f4 v[220:223], a[76:79], v[80:83], 0, v30, v43 op_sel_hi:[0,0,0] cbsz:4 blgp:4// 0000000097F0: D3AC7800 0002571E D3AD0CDC 8A02A14C
	ds_read_b32 v140, v9 offset:26144                          // 000000009800: D86C6620 8C000009
	ds_read_b32 v141, v9 offset:30496                          // 000000009808: D86C7720 8D000009
	ds_read_b32 v142, v9 offset:26152                          // 000000009810: D86C6628 8E000009
	ds_read_b32 v143, v9 offset:30504                          // 000000009818: D86C7728 8F000009
	s_waitcnt vmcnt(34)                                        // 000000009820: BF8C8F72
	v_mfma_scale_f32_16x16x128_f8f6f4 v[192:195], a[80:83], v[68:71], v[192:195], v29, v43 op_sel_hi:[0,0,0] cbsz:4 blgp:4// 000000009824: D3AC6000 1802571D D3AD0CC0 8F028950
	buffer_load_dwordx4 a[16:19], v60, s[12:15], 0 offen offset:1024// 000000009834: E05C1400 8083103C
	v_mfma_scale_f32_16x16x128_f8f6f4 v[196:199], a[80:83], v[84:87], v[196:199], v29, v43 op_sel_hi:[0,0,0] cbsz:4 blgp:4// 00000000983C: D3AC7000 1802571D D3AD0CC4 8F12A950
	ds_write_b64 v8, v[160:161]                                // 00000000984C: D89A0000 0000A008
	ds_write_b64 v8, v[162:163] offset:8704                    // 000000009854: D89A2200 0000A208
	v_mfma_scale_f32_16x16x128_f8f6f4 v[200:203], a[84:87], v[68:71], v[200:203], v29, v43 op_sel_hi:[0,0,0] cbsz:4 blgp:4// 00000000985C: D3AC6800 1802571D D3AD0CC8 8F228954
	buffer_load_dwordx4 a[20:23], v61, s[12:15], 0 offen offset:1024// 00000000986C: E05C1400 8083143D
	v_mfma_scale_f32_16x16x128_f8f6f4 v[204:207], a[84:87], v[84:87], v[204:207], v29, v43 op_sel_hi:[0,0,0] cbsz:4 blgp:4// 000000009874: D3AC7800 1802571D D3AD0CCC 8F32A954
	ds_write_b64 v8, v[164:165] offset:544                     // 000000009884: D89A0220 0000A408
	ds_write_b64 v8, v[166:167] offset:9248                    // 00000000988C: D89A2420 0000A608
	s_waitcnt vmcnt(34)                                        // 000000009894: BF8C8F72
	v_mfma_scale_f32_16x16x128_f8f6f4 v[208:211], a[88:91], v[68:71], v[208:211], v30, v43 op_sel_hi:[0,0,0] cbsz:4 blgp:4// 000000009898: D3AC6000 1802571E D3AD0CD0 8F428958
	buffer_load_dwordx4 a[24:27], v62, s[12:15], 0 offen offset:1024// 0000000098A8: E05C1400 8083183E
	v_mfma_scale_f32_16x16x128_f8f6f4 v[212:215], a[88:91], v[84:87], v[212:215], v30, v43 op_sel_hi:[0,0,0] cbsz:4 blgp:4// 0000000098B0: D3AC7000 1802571E D3AD0CD4 8F52A958
	ds_write_b64 v8, v[168:169] offset:4352                    // 0000000098C0: D89A1100 0000A808
	ds_write_b64 v8, v[170:171] offset:13056                   // 0000000098C8: D89A3300 0000AA08
	v_mfma_scale_f32_16x16x128_f8f6f4 v[216:219], a[92:95], v[68:71], v[216:219], v30, v43 op_sel_hi:[0,0,0] cbsz:4 blgp:4// 0000000098D0: D3AC6800 1802571E D3AD0CD8 8F62895C
	buffer_load_dwordx4 a[28:31], v63, s[12:15], 0 offen offset:1024// 0000000098E0: E05C1400 80831C3F
	v_mfma_scale_f32_16x16x128_f8f6f4 v[220:223], a[92:95], v[84:87], v[220:223], v30, v43 op_sel_hi:[0,0,0] cbsz:4 blgp:4// 0000000098E8: D3AC7800 1802571E D3AD0CDC 8F72A95C
	ds_write_b64 v8, v[172:173] offset:4896                    // 0000000098F8: D89A1320 0000AC08
	ds_write_b64 v8, v[174:175] offset:13600                   // 000000009900: D89A3520 0000AE08
	s_waitcnt vmcnt(34)                                        // 000000009908: BF8C8F72
	v_mfma_scale_f32_16x16x128_f8f6f4 v[192:195], a[96:99], v[72:75], v[192:195], v31, v44 op_sel_hi:[0,0,0] cbsz:4 blgp:4// 00000000990C: D3AC6000 0002591F D3AD0CC0 8F029160
	buffer_load_dwordx4 a[32:35], v60, s[12:15], 0 offen offset:2048// 00000000991C: E05C1800 8083203C
	v_mfma_scale_f32_16x16x128_f8f6f4 v[196:199], a[96:99], v[88:91], v[196:199], v31, v44 op_sel_hi:[0,0,0] cbsz:4 blgp:4// 000000009924: D3AC7000 0002591F D3AD0CC4 8F12B160
	v_mfma_scale_f32_16x16x128_f8f6f4 v[200:203], a[100:103], v[72:75], v[200:203], v31, v44 op_sel_hi:[0,0,0] cbsz:4 blgp:4// 000000009934: D3AC6800 0002591F D3AD0CC8 8F229164
	buffer_load_dwordx4 a[36:39], v61, s[12:15], 0 offen offset:2048// 000000009944: E05C1800 8083243D
	v_mfma_scale_f32_16x16x128_f8f6f4 v[204:207], a[100:103], v[88:91], v[204:207], v31, v44 op_sel_hi:[0,0,0] cbsz:4 blgp:4// 00000000994C: D3AC7800 0002591F D3AD0CCC 8F32B164
	s_waitcnt vmcnt(34)                                        // 00000000995C: BF8C8F72
	v_mfma_scale_f32_16x16x128_f8f6f4 v[208:211], a[104:107], v[72:75], v[208:211], v32, v44 op_sel_hi:[0,0,0] cbsz:4 blgp:4// 000000009960: D3AC6000 00025920 D3AD0CD0 8F429168
	buffer_load_dwordx4 a[40:43], v62, s[12:15], 0 offen offset:2048// 000000009970: E05C1800 8083283E
	v_mfma_scale_f32_16x16x128_f8f6f4 v[212:215], a[104:107], v[88:91], v[212:215], v32, v44 op_sel_hi:[0,0,0] cbsz:4 blgp:4// 000000009978: D3AC7000 00025920 D3AD0CD4 8F52B168
	v_mfma_scale_f32_16x16x128_f8f6f4 v[216:219], a[108:111], v[72:75], v[216:219], v32, v44 op_sel_hi:[0,0,0] cbsz:4 blgp:4// 000000009988: D3AC6800 00025920 D3AD0CD8 8F62916C
	buffer_load_dwordx4 a[44:47], v63, s[12:15], 0 offen offset:2048// 000000009998: E05C1800 80832C3F
	v_mfma_scale_f32_16x16x128_f8f6f4 v[220:223], a[108:111], v[88:91], v[220:223], v32, v44 op_sel_hi:[0,0,0] cbsz:4 blgp:4// 0000000099A0: D3AC7800 00025920 D3AD0CDC 8F72B16C
	s_waitcnt vmcnt(34)                                        // 0000000099B0: BF8C8F72
	v_mfma_scale_f32_16x16x128_f8f6f4 v[192:195], a[112:115], v[76:79], v[192:195], v31, v44 op_sel_hi:[0,0,0] cbsz:4 blgp:4// 0000000099B4: D3AC6000 1802591F D3AD0CC0 8F029970
	buffer_load_dwordx4 a[48:51], v60, s[12:15], 0 offen offset:3072// 0000000099C4: E05C1C00 8083303C
	v_mfma_scale_f32_16x16x128_f8f6f4 v[196:199], a[112:115], v[92:95], v[196:199], v31, v44 op_sel_hi:[0,0,0] cbsz:4 blgp:4// 0000000099CC: D3AC7000 1802591F D3AD0CC4 8F12B970
	v_mfma_scale_f32_16x16x128_f8f6f4 v[200:203], a[116:119], v[76:79], v[200:203], v31, v44 op_sel_hi:[0,0,0] cbsz:4 blgp:4// 0000000099DC: D3AC6800 1802591F D3AD0CC8 8F229974
	buffer_load_dwordx4 a[52:55], v61, s[12:15], 0 offen offset:3072// 0000000099EC: E05C1C00 8083343D
	v_mfma_scale_f32_16x16x128_f8f6f4 v[204:207], a[116:119], v[92:95], v[204:207], v31, v44 op_sel_hi:[0,0,0] cbsz:4 blgp:4// 0000000099F4: D3AC7800 1802591F D3AD0CCC 8F32B974
	s_waitcnt vmcnt(34)                                        // 000000009A04: BF8C8F72
	v_mfma_scale_f32_16x16x128_f8f6f4 v[208:211], a[120:123], v[76:79], v[208:211], v32, v44 op_sel_hi:[0,0,0] cbsz:4 blgp:4// 000000009A08: D3AC6000 18025920 D3AD0CD0 8F429978
	buffer_load_dwordx4 a[56:59], v62, s[12:15], 0 offen offset:3072// 000000009A18: E05C1C00 8083383E
	v_mfma_scale_f32_16x16x128_f8f6f4 v[212:215], a[120:123], v[92:95], v[212:215], v32, v44 op_sel_hi:[0,0,0] cbsz:4 blgp:4// 000000009A20: D3AC7000 18025920 D3AD0CD4 8F52B978
	v_mfma_scale_f32_16x16x128_f8f6f4 v[216:219], a[124:127], v[76:79], v[216:219], v32, v44 op_sel_hi:[0,0,0] cbsz:4 blgp:4// 000000009A30: D3AC6800 18025920 D3AD0CD8 8F62997C
	buffer_load_dwordx4 a[60:63], v63, s[12:15], 0 offen offset:3072// 000000009A40: E05C1C00 80833C3F
	v_mfma_scale_f32_16x16x128_f8f6f4 v[220:223], a[124:127], v[92:95], v[220:223], v32, v44 op_sel_hi:[0,0,0] cbsz:4 blgp:4// 000000009A48: D3AC7800 18025920 D3AD0CDC 8F72B97C
	s_add_u32 s60, 0x200, s80                                  // 000000009A58: 803C50FF 00000200
	s_cmp_lt_u32 s60, s81                                      // 000000009A60: BF0A513C
	s_cselect_b32 s56, s56, 0                                  // 000000009A64: 85388038
	s_cselect_b32 s78, s78, 0                                  // 000000009A68: 854E804E
	s_cselect_b32 s79, s79, 0                                  // 000000009A6C: 854F804F
	s_add_u32 s12, s56, s12                                    // 000000009A70: 800C0C38
	s_addc_u32 s13, 0, s13                                     // 000000009A74: 820D0D80
	s_add_u32 s16, s79, s16                                    // 000000009A78: 8010104F
	s_addc_u32 s17, 0, s17                                     // 000000009A7C: 82111180
	v_mov_b32_e32 v2, v41                                      // 000000009A80: 7E040329
	v_mov_b32_e32 v3, v41                                      // 000000009A84: 7E060329
	v_pk_mul_f32 v[192:193], v[2:3], v[192:193]                // 000000009A88: D3B140C0 18038102
	v_pk_mul_f32 v[194:195], v[2:3], v[194:195]                // 000000009A90: D3B140C2 18038502
	v_pk_mul_f32 v[200:201], v[2:3], v[200:201]                // 000000009A98: D3B140C8 18039102
	v_pk_mul_f32 v[202:203], v[2:3], v[202:203]                // 000000009AA0: D3B140CA 18039502
	v_pk_mul_f32 v[208:209], v[2:3], v[208:209]                // 000000009AA8: D3B140D0 1803A102
	v_pk_mul_f32 v[210:211], v[2:3], v[210:211]                // 000000009AB0: D3B140D2 1803A502
	v_pk_mul_f32 v[216:217], v[2:3], v[216:217]                // 000000009AB8: D3B140D8 1803B102
	v_pk_mul_f32 v[218:219], v[2:3], v[218:219]                // 000000009AC0: D3B140DA 1803B502
	v_mov_b32_e32 v2, v42                                      // 000000009AC8: 7E04032A
	v_mov_b32_e32 v3, v42                                      // 000000009ACC: 7E06032A
	v_pk_mul_f32 v[196:197], v[2:3], v[196:197]                // 000000009AD0: D3B140C4 18038902
	v_pk_mul_f32 v[198:199], v[2:3], v[198:199]                // 000000009AD8: D3B140C6 18038D02
	v_pk_mul_f32 v[204:205], v[2:3], v[204:205]                // 000000009AE0: D3B140CC 18039902
	v_pk_mul_f32 v[206:207], v[2:3], v[206:207]                // 000000009AE8: D3B140CE 18039D02
	v_pk_mul_f32 v[212:213], v[2:3], v[212:213]                // 000000009AF0: D3B140D4 1803A902
	v_pk_mul_f32 v[214:215], v[2:3], v[214:215]                // 000000009AF8: D3B140D6 1803AD02
	v_pk_mul_f32 v[220:221], v[2:3], v[220:221]                // 000000009B00: D3B140DC 1803B902
	v_pk_mul_f32 v[222:223], v[2:3], v[222:223]                // 000000009B08: D3B140DE 1803BD02
	v_cvt_pkrtz_f16_f32 v192, v192, v193                       // 000000009B10: D29600C0 000383C0
	v_cvt_pkrtz_f16_f32 v193, v194, v195                       // 000000009B18: D29600C1 000387C2
	v_cvt_pkrtz_f16_f32 v194, v196, v197                       // 000000009B20: D29600C2 00038BC4
	v_cvt_pkrtz_f16_f32 v195, v198, v199                       // 000000009B28: D29600C3 00038FC6
	v_cvt_pkrtz_f16_f32 v196, v200, v201                       // 000000009B30: D29600C4 000393C8
	v_cvt_pkrtz_f16_f32 v197, v202, v203                       // 000000009B38: D29600C5 000397CA
	v_cvt_pkrtz_f16_f32 v198, v204, v205                       // 000000009B40: D29600C6 00039BCC
	v_cvt_pkrtz_f16_f32 v199, v206, v207                       // 000000009B48: D29600C7 00039FCE
	v_cvt_pkrtz_f16_f32 v200, v208, v209                       // 000000009B50: D29600C8 0003A3D0
	v_cvt_pkrtz_f16_f32 v201, v210, v211                       // 000000009B58: D29600C9 0003A7D2
	v_cvt_pkrtz_f16_f32 v202, v212, v213                       // 000000009B60: D29600CA 0003ABD4
	v_cvt_pkrtz_f16_f32 v203, v214, v215                       // 000000009B68: D29600CB 0003AFD6
	v_cvt_pkrtz_f16_f32 v204, v216, v217                       // 000000009B70: D29600CC 0003B3D8
	v_cvt_pkrtz_f16_f32 v205, v218, v219                       // 000000009B78: D29600CD 0003B7DA
	v_cvt_pkrtz_f16_f32 v206, v220, v221                       // 000000009B80: D29600CE 0003BBDC
	v_cvt_pkrtz_f16_f32 v207, v222, v223                       // 000000009B88: D29600CF 0003BFDE
	s_cmp_ge_u32 s80, 0x200                                    // 000000009B90: BF09FF50 00000200
	s_cselect_b32 s59, 0x200, s59                              // 000000009B98: 853B3BFF 00000200
	s_mov_b64 exec, s[20:21]                                   // 000000009BA0: BEFE0114
	global_atomic_pk_add_f16 v144, v128, s[8:9]                // 000000009BA4: DD388000 00088090
	s_mov_b64 exec, s[36:37]                                   // 000000009BAC: BEFE0124
	s_mov_b64 exec, s[20:21]                                   // 000000009BB0: BEFE0114
	global_atomic_pk_add_f16 v144, v129, s[8:9] offset:256     // 000000009BB4: DD388100 00088190
	s_mov_b64 exec, s[36:37]                                   // 000000009BBC: BEFE0124
	s_mov_b64 exec, s[22:23]                                   // 000000009BC0: BEFE0116
	global_atomic_pk_add_f16 v146, v130, s[8:9]                // 000000009BC4: DD388000 00088292
	s_mov_b64 exec, s[36:37]                                   // 000000009BCC: BEFE0124
	s_mov_b64 exec, s[22:23]                                   // 000000009BD0: BEFE0116
	global_atomic_pk_add_f16 v146, v131, s[8:9] offset:256     // 000000009BD4: DD388100 00088392
	s_mov_b64 exec, s[36:37]                                   // 000000009BDC: BEFE0124
	s_mov_b64 exec, s[24:25]                                   // 000000009BE0: BEFE0118
	global_atomic_pk_add_f16 v148, v132, s[8:9]                // 000000009BE4: DD388000 00088494
	s_mov_b64 exec, s[36:37]                                   // 000000009BEC: BEFE0124
	s_mov_b64 exec, s[24:25]                                   // 000000009BF0: BEFE0118
	global_atomic_pk_add_f16 v148, v133, s[8:9] offset:256     // 000000009BF4: DD388100 00088594
	s_mov_b64 exec, s[36:37]                                   // 000000009BFC: BEFE0124
	s_mov_b64 exec, s[26:27]                                   // 000000009C00: BEFE011A
	global_atomic_pk_add_f16 v150, v134, s[8:9]                // 000000009C04: DD388000 00088696
	s_mov_b64 exec, s[36:37]                                   // 000000009C0C: BEFE0124
	s_mov_b64 exec, s[26:27]                                   // 000000009C10: BEFE011A
	global_atomic_pk_add_f16 v150, v135, s[8:9] offset:256     // 000000009C14: DD388100 00088796
	s_mov_b64 exec, s[36:37]                                   // 000000009C1C: BEFE0124
	s_mov_b64 exec, s[28:29]                                   // 000000009C20: BEFE011C
	global_atomic_pk_add_f16 v152, v136, s[8:9]                // 000000009C24: DD388000 00088898
	s_mov_b64 exec, s[36:37]                                   // 000000009C2C: BEFE0124
	s_mov_b64 exec, s[28:29]                                   // 000000009C30: BEFE011C
	global_atomic_pk_add_f16 v152, v137, s[8:9] offset:256     // 000000009C34: DD388100 00088998
	s_mov_b64 exec, s[36:37]                                   // 000000009C3C: BEFE0124
	s_mov_b64 exec, s[30:31]                                   // 000000009C40: BEFE011E
	global_atomic_pk_add_f16 v154, v138, s[8:9]                // 000000009C44: DD388000 00088A9A
	s_mov_b64 exec, s[36:37]                                   // 000000009C4C: BEFE0124
	s_mov_b64 exec, s[30:31]                                   // 000000009C50: BEFE011E
	global_atomic_pk_add_f16 v154, v139, s[8:9] offset:256     // 000000009C54: DD388100 00088B9A
	s_mov_b64 exec, s[36:37]                                   // 000000009C5C: BEFE0124
	s_mov_b64 exec, s[32:33]                                   // 000000009C60: BEFE0120
	global_atomic_pk_add_f16 v156, v140, s[8:9]                // 000000009C64: DD388000 00088C9C
	s_mov_b64 exec, s[36:37]                                   // 000000009C6C: BEFE0124
	s_mov_b64 exec, s[32:33]                                   // 000000009C70: BEFE0120
	global_atomic_pk_add_f16 v156, v141, s[8:9] offset:256     // 000000009C74: DD388100 00088D9C
	s_mov_b64 exec, s[36:37]                                   // 000000009C7C: BEFE0124
	s_mov_b64 exec, s[34:35]                                   // 000000009C80: BEFE0122
	global_atomic_pk_add_f16 v158, v142, s[8:9]                // 000000009C84: DD388000 00088E9E
	s_mov_b64 exec, s[36:37]                                   // 000000009C8C: BEFE0124
	s_mov_b64 exec, s[34:35]                                   // 000000009C90: BEFE0122
	global_atomic_pk_add_f16 v158, v143, s[8:9] offset:256     // 000000009C94: DD388100 00088F9E
	s_mov_b64 exec, s[36:37]                                   // 000000009C9C: BEFE0124
	s_add_u32 s8, s59, s8                                      // 000000009CA0: 8008083B
	s_addc_u32 s9, 0, s9                                       // 000000009CA4: 82090980
	s_addk_i32 s80, 0x100                                      // 000000009CA8: B7500100
	s_cmp_lt_i32 s80, s81                                      // 000000009CAC: BF045150
	s_cbranch_scc0 label_0F47                                  // 000000009CB0: BF84F39A
	s_branch label_18B5                                        // 000000009CB4: BF82FD07

0000000000009cb8 <label_1BAE>:
	s_cmp_ge_u32 s59, 0                                        // 000000009CB8: BF09803B
	s_cselect_b32 s59, 0x200, s59                              // 000000009CBC: 853B3BFF 00000200
	s_waitcnt lgkmcnt(0)                                       // 000000009CC4: BF8CC07F
	s_barrier                                                  // 000000009CC8: BF8A0000
	s_cmp_eq_u32 s64, 0x100                                    // 000000009CCC: BF06FF40 00000100
	s_cbranch_scc0 label_1C2A                                  // 000000009CD4: BF840074
	ds_write_b64 v8, v[160:161]                                // 000000009CD8: D89A0000 0000A008
	ds_write_b64 v8, v[162:163] offset:8704                    // 000000009CE0: D89A2200 0000A208
	ds_write_b64 v8, v[164:165] offset:544                     // 000000009CE8: D89A0220 0000A408
	ds_write_b64 v8, v[166:167] offset:9248                    // 000000009CF0: D89A2420 0000A608
	ds_write_b64 v8, v[168:169] offset:4352                    // 000000009CF8: D89A1100 0000A808
	ds_write_b64 v8, v[170:171] offset:13056                   // 000000009D00: D89A3300 0000AA08
	ds_write_b64 v8, v[172:173] offset:4896                    // 000000009D08: D89A1320 0000AC08
	ds_write_b64 v8, v[174:175] offset:13600                   // 000000009D10: D89A3520 0000AE08
	s_waitcnt lgkmcnt(0)                                       // 000000009D18: BF8CC07F
	s_barrier                                                  // 000000009D1C: BF8A0000
	ds_read_b32 v128, v9                                       // 000000009D20: D86C0000 80000009
	ds_read_b32 v129, v9 offset:4352                           // 000000009D28: D86C1100 81000009
	ds_read_b32 v130, v9 offset:8                              // 000000009D30: D86C0008 82000009
	ds_read_b32 v131, v9 offset:4360                           // 000000009D38: D86C1108 83000009
	ds_read_b32 v132, v9 offset:32                             // 000000009D40: D86C0020 84000009
	ds_read_b32 v133, v9 offset:4384                           // 000000009D48: D86C1120 85000009
	ds_read_b32 v134, v9 offset:40                             // 000000009D50: D86C0028 86000009
	ds_read_b32 v135, v9 offset:4392                           // 000000009D58: D86C1128 87000009
	ds_read_b32 v136, v9 offset:8704                           // 000000009D60: D86C2200 88000009
	ds_read_b32 v137, v9 offset:13056                          // 000000009D68: D86C3300 89000009
	ds_read_b32 v138, v9 offset:8712                           // 000000009D70: D86C2208 8A000009
	ds_read_b32 v139, v9 offset:13064                          // 000000009D78: D86C3308 8B000009
	ds_read_b32 v140, v9 offset:8736                           // 000000009D80: D86C2220 8C000009
	ds_read_b32 v141, v9 offset:13088                          // 000000009D88: D86C3320 8D000009
	ds_read_b32 v142, v9 offset:8744                           // 000000009D90: D86C2228 8E000009
	ds_read_b32 v143, v9 offset:13096                          // 000000009D98: D86C3328 8F000009
	s_waitcnt lgkmcnt(0)                                       // 000000009DA0: BF8CC07F
	s_mov_b64 exec, s[20:21]                                   // 000000009DA4: BEFE0114
	global_atomic_pk_add_f16 v144, v128, s[8:9]                // 000000009DA8: DD388000 00088090
	s_mov_b64 exec, s[36:37]                                   // 000000009DB0: BEFE0124
	s_mov_b64 exec, s[20:21]                                   // 000000009DB4: BEFE0114
	global_atomic_pk_add_f16 v144, v129, s[8:9] offset:256     // 000000009DB8: DD388100 00088190
	s_mov_b64 exec, s[36:37]                                   // 000000009DC0: BEFE0124
	s_mov_b64 exec, s[22:23]                                   // 000000009DC4: BEFE0116
	global_atomic_pk_add_f16 v146, v130, s[8:9]                // 000000009DC8: DD388000 00088292
	s_mov_b64 exec, s[36:37]                                   // 000000009DD0: BEFE0124
	s_mov_b64 exec, s[22:23]                                   // 000000009DD4: BEFE0116
	global_atomic_pk_add_f16 v146, v131, s[8:9] offset:256     // 000000009DD8: DD388100 00088392
	s_mov_b64 exec, s[36:37]                                   // 000000009DE0: BEFE0124
	s_mov_b64 exec, s[24:25]                                   // 000000009DE4: BEFE0118
	global_atomic_pk_add_f16 v148, v132, s[8:9]                // 000000009DE8: DD388000 00088494
	s_mov_b64 exec, s[36:37]                                   // 000000009DF0: BEFE0124
	s_mov_b64 exec, s[24:25]                                   // 000000009DF4: BEFE0118
	global_atomic_pk_add_f16 v148, v133, s[8:9] offset:256     // 000000009DF8: DD388100 00088594
	s_mov_b64 exec, s[36:37]                                   // 000000009E00: BEFE0124
	s_mov_b64 exec, s[26:27]                                   // 000000009E04: BEFE011A
	global_atomic_pk_add_f16 v150, v134, s[8:9]                // 000000009E08: DD388000 00088696
	s_mov_b64 exec, s[36:37]                                   // 000000009E10: BEFE0124
	s_mov_b64 exec, s[26:27]                                   // 000000009E14: BEFE011A
	global_atomic_pk_add_f16 v150, v135, s[8:9] offset:256     // 000000009E18: DD388100 00088796
	s_mov_b64 exec, s[36:37]                                   // 000000009E20: BEFE0124
	s_mov_b64 exec, s[28:29]                                   // 000000009E24: BEFE011C
	global_atomic_pk_add_f16 v152, v136, s[8:9]                // 000000009E28: DD388000 00088898
	s_mov_b64 exec, s[36:37]                                   // 000000009E30: BEFE0124
	s_mov_b64 exec, s[28:29]                                   // 000000009E34: BEFE011C
	global_atomic_pk_add_f16 v152, v137, s[8:9] offset:256     // 000000009E38: DD388100 00088998
	s_mov_b64 exec, s[36:37]                                   // 000000009E40: BEFE0124
	s_mov_b64 exec, s[30:31]                                   // 000000009E44: BEFE011E
	global_atomic_pk_add_f16 v154, v138, s[8:9]                // 000000009E48: DD388000 00088A9A
	s_mov_b64 exec, s[36:37]                                   // 000000009E50: BEFE0124
	s_mov_b64 exec, s[30:31]                                   // 000000009E54: BEFE011E
	global_atomic_pk_add_f16 v154, v139, s[8:9] offset:256     // 000000009E58: DD388100 00088B9A
	s_mov_b64 exec, s[36:37]                                   // 000000009E60: BEFE0124
	s_mov_b64 exec, s[32:33]                                   // 000000009E64: BEFE0120
	global_atomic_pk_add_f16 v156, v140, s[8:9]                // 000000009E68: DD388000 00088C9C
	s_mov_b64 exec, s[36:37]                                   // 000000009E70: BEFE0124
	s_mov_b64 exec, s[32:33]                                   // 000000009E74: BEFE0120
	global_atomic_pk_add_f16 v156, v141, s[8:9] offset:256     // 000000009E78: DD388100 00088D9C
	s_mov_b64 exec, s[36:37]                                   // 000000009E80: BEFE0124
	s_mov_b64 exec, s[34:35]                                   // 000000009E84: BEFE0122
	global_atomic_pk_add_f16 v158, v142, s[8:9]                // 000000009E88: DD388000 00088E9E
	s_mov_b64 exec, s[36:37]                                   // 000000009E90: BEFE0124
	s_mov_b64 exec, s[34:35]                                   // 000000009E94: BEFE0122
	global_atomic_pk_add_f16 v158, v143, s[8:9] offset:256     // 000000009E98: DD388100 00088F9E
	s_mov_b64 exec, s[36:37]                                   // 000000009EA0: BEFE0124
	s_branch label_1D00                                        // 000000009EA4: BF8200D6

0000000000009ea8 <label_1C2A>:
	ds_read_b32 v128, v9                                       // 000000009EA8: D86C0000 80000009
	ds_read_b32 v129, v9 offset:4352                           // 000000009EB0: D86C1100 81000009
	ds_read_b32 v130, v9 offset:8                              // 000000009EB8: D86C0008 82000009
	ds_read_b32 v131, v9 offset:4360                           // 000000009EC0: D86C1108 83000009
	ds_read_b32 v132, v9 offset:32                             // 000000009EC8: D86C0020 84000009
	ds_read_b32 v133, v9 offset:4384                           // 000000009ED0: D86C1120 85000009
	ds_read_b32 v134, v9 offset:40                             // 000000009ED8: D86C0028 86000009
	ds_read_b32 v135, v9 offset:4392                           // 000000009EE0: D86C1128 87000009
	ds_read_b32 v136, v9 offset:8704                           // 000000009EE8: D86C2200 88000009
	ds_read_b32 v137, v9 offset:13056                          // 000000009EF0: D86C3300 89000009
	ds_read_b32 v138, v9 offset:8712                           // 000000009EF8: D86C2208 8A000009
	ds_read_b32 v139, v9 offset:13064                          // 000000009F00: D86C3308 8B000009
	ds_read_b32 v140, v9 offset:8736                           // 000000009F08: D86C2220 8C000009
	ds_read_b32 v141, v9 offset:13088                          // 000000009F10: D86C3320 8D000009
	ds_read_b32 v142, v9 offset:8744                           // 000000009F18: D86C2228 8E000009
	ds_read_b32 v143, v9 offset:13096                          // 000000009F20: D86C3328 8F000009
	s_waitcnt lgkmcnt(0)                                       // 000000009F28: BF8CC07F
	s_mov_b64 exec, s[20:21]                                   // 000000009F2C: BEFE0114
	global_atomic_pk_add_f16 v144, v128, s[8:9]                // 000000009F30: DD388000 00088090
	s_mov_b64 exec, s[36:37]                                   // 000000009F38: BEFE0124
	s_mov_b64 exec, s[20:21]                                   // 000000009F3C: BEFE0114
	global_atomic_pk_add_f16 v144, v129, s[8:9] offset:256     // 000000009F40: DD388100 00088190
	s_mov_b64 exec, s[36:37]                                   // 000000009F48: BEFE0124
	s_mov_b64 exec, s[22:23]                                   // 000000009F4C: BEFE0116
	global_atomic_pk_add_f16 v146, v130, s[8:9]                // 000000009F50: DD388000 00088292
	s_mov_b64 exec, s[36:37]                                   // 000000009F58: BEFE0124
	s_mov_b64 exec, s[22:23]                                   // 000000009F5C: BEFE0116
	global_atomic_pk_add_f16 v146, v131, s[8:9] offset:256     // 000000009F60: DD388100 00088392
	s_mov_b64 exec, s[36:37]                                   // 000000009F68: BEFE0124
	s_mov_b64 exec, s[24:25]                                   // 000000009F6C: BEFE0118
	global_atomic_pk_add_f16 v148, v132, s[8:9]                // 000000009F70: DD388000 00088494
	s_mov_b64 exec, s[36:37]                                   // 000000009F78: BEFE0124
	s_mov_b64 exec, s[24:25]                                   // 000000009F7C: BEFE0118
	global_atomic_pk_add_f16 v148, v133, s[8:9] offset:256     // 000000009F80: DD388100 00088594
	s_mov_b64 exec, s[36:37]                                   // 000000009F88: BEFE0124
	s_mov_b64 exec, s[26:27]                                   // 000000009F8C: BEFE011A
	global_atomic_pk_add_f16 v150, v134, s[8:9]                // 000000009F90: DD388000 00088696
	s_mov_b64 exec, s[36:37]                                   // 000000009F98: BEFE0124
	s_mov_b64 exec, s[26:27]                                   // 000000009F9C: BEFE011A
	global_atomic_pk_add_f16 v150, v135, s[8:9] offset:256     // 000000009FA0: DD388100 00088796
	s_mov_b64 exec, s[36:37]                                   // 000000009FA8: BEFE0124
	s_mov_b64 exec, s[28:29]                                   // 000000009FAC: BEFE011C
	global_atomic_pk_add_f16 v152, v136, s[8:9]                // 000000009FB0: DD388000 00088898
	s_mov_b64 exec, s[36:37]                                   // 000000009FB8: BEFE0124
	s_mov_b64 exec, s[28:29]                                   // 000000009FBC: BEFE011C
	global_atomic_pk_add_f16 v152, v137, s[8:9] offset:256     // 000000009FC0: DD388100 00088998
	s_mov_b64 exec, s[36:37]                                   // 000000009FC8: BEFE0124
	s_mov_b64 exec, s[30:31]                                   // 000000009FCC: BEFE011E
	global_atomic_pk_add_f16 v154, v138, s[8:9]                // 000000009FD0: DD388000 00088A9A
	s_mov_b64 exec, s[36:37]                                   // 000000009FD8: BEFE0124
	s_mov_b64 exec, s[30:31]                                   // 000000009FDC: BEFE011E
	global_atomic_pk_add_f16 v154, v139, s[8:9] offset:256     // 000000009FE0: DD388100 00088B9A
	s_mov_b64 exec, s[36:37]                                   // 000000009FE8: BEFE0124
	s_mov_b64 exec, s[32:33]                                   // 000000009FEC: BEFE0120
	global_atomic_pk_add_f16 v156, v140, s[8:9]                // 000000009FF0: DD388000 00088C9C
	s_mov_b64 exec, s[36:37]                                   // 000000009FF8: BEFE0124
	s_mov_b64 exec, s[32:33]                                   // 000000009FFC: BEFE0120
	global_atomic_pk_add_f16 v156, v141, s[8:9] offset:256     // 00000000A000: DD388100 00088D9C
	s_mov_b64 exec, s[36:37]                                   // 00000000A008: BEFE0124
	s_mov_b64 exec, s[34:35]                                   // 00000000A00C: BEFE0122
	global_atomic_pk_add_f16 v158, v142, s[8:9]                // 00000000A010: DD388000 00088E9E
	s_mov_b64 exec, s[36:37]                                   // 00000000A018: BEFE0124
	s_mov_b64 exec, s[34:35]                                   // 00000000A01C: BEFE0122
	global_atomic_pk_add_f16 v158, v143, s[8:9] offset:256     // 00000000A020: DD388100 00088F9E
	s_mov_b64 exec, s[36:37]                                   // 00000000A028: BEFE0124
	s_add_u32 s8, s59, s8                                      // 00000000A02C: 8008083B
	s_addc_u32 s9, 0, s9                                       // 00000000A030: 82090980
	ds_write_b64 v8, v[192:193] offset:17408                   // 00000000A034: D89A4400 0000C008
	ds_write_b64 v8, v[194:195] offset:26112                   // 00000000A03C: D89A6600 0000C208
	ds_write_b64 v8, v[196:197] offset:17952                   // 00000000A044: D89A4620 0000C408
	ds_write_b64 v8, v[198:199] offset:26656                   // 00000000A04C: D89A6820 0000C608
	ds_write_b64 v8, v[200:201] offset:21760                   // 00000000A054: D89A5500 0000C808
	ds_write_b64 v8, v[202:203] offset:30464                   // 00000000A05C: D89A7700 0000CA08
	ds_write_b64 v8, v[204:205] offset:22304                   // 00000000A064: D89A5720 0000CC08
	ds_write_b64 v8, v[206:207] offset:31008                   // 00000000A06C: D89A7920 0000CE08
	s_waitcnt lgkmcnt(0)                                       // 00000000A074: BF8CC07F
	s_barrier                                                  // 00000000A078: BF8A0000
	ds_read_b32 v128, v9 offset:17408                          // 00000000A07C: D86C4400 80000009
	ds_read_b32 v129, v9 offset:21760                          // 00000000A084: D86C5500 81000009
	ds_read_b32 v130, v9 offset:17416                          // 00000000A08C: D86C4408 82000009
	ds_read_b32 v131, v9 offset:21768                          // 00000000A094: D86C5508 83000009
	ds_read_b32 v132, v9 offset:17440                          // 00000000A09C: D86C4420 84000009
	ds_read_b32 v133, v9 offset:21792                          // 00000000A0A4: D86C5520 85000009
	ds_read_b32 v134, v9 offset:17448                          // 00000000A0AC: D86C4428 86000009
	ds_read_b32 v135, v9 offset:21800                          // 00000000A0B4: D86C5528 87000009
	ds_read_b32 v136, v9 offset:26112                          // 00000000A0BC: D86C6600 88000009
	ds_read_b32 v137, v9 offset:30464                          // 00000000A0C4: D86C7700 89000009
	ds_read_b32 v138, v9 offset:26120                          // 00000000A0CC: D86C6608 8A000009
	ds_read_b32 v139, v9 offset:30472                          // 00000000A0D4: D86C7708 8B000009
	ds_read_b32 v140, v9 offset:26144                          // 00000000A0DC: D86C6620 8C000009
	ds_read_b32 v141, v9 offset:30496                          // 00000000A0E4: D86C7720 8D000009
	ds_read_b32 v142, v9 offset:26152                          // 00000000A0EC: D86C6628 8E000009
	ds_read_b32 v143, v9 offset:30504                          // 00000000A0F4: D86C7728 8F000009
	s_waitcnt lgkmcnt(0)                                       // 00000000A0FC: BF8CC07F
	s_mov_b64 exec, s[20:21]                                   // 00000000A100: BEFE0114
	global_atomic_pk_add_f16 v144, v128, s[8:9]                // 00000000A104: DD388000 00088090
	s_mov_b64 exec, s[36:37]                                   // 00000000A10C: BEFE0124
	s_mov_b64 exec, s[20:21]                                   // 00000000A110: BEFE0114
	global_atomic_pk_add_f16 v144, v129, s[8:9] offset:256     // 00000000A114: DD388100 00088190
	s_mov_b64 exec, s[36:37]                                   // 00000000A11C: BEFE0124
	s_mov_b64 exec, s[22:23]                                   // 00000000A120: BEFE0116
	global_atomic_pk_add_f16 v146, v130, s[8:9]                // 00000000A124: DD388000 00088292
	s_mov_b64 exec, s[36:37]                                   // 00000000A12C: BEFE0124
	s_mov_b64 exec, s[22:23]                                   // 00000000A130: BEFE0116
	global_atomic_pk_add_f16 v146, v131, s[8:9] offset:256     // 00000000A134: DD388100 00088392
	s_mov_b64 exec, s[36:37]                                   // 00000000A13C: BEFE0124
	s_mov_b64 exec, s[24:25]                                   // 00000000A140: BEFE0118
	global_atomic_pk_add_f16 v148, v132, s[8:9]                // 00000000A144: DD388000 00088494
	s_mov_b64 exec, s[36:37]                                   // 00000000A14C: BEFE0124
	s_mov_b64 exec, s[24:25]                                   // 00000000A150: BEFE0118
	global_atomic_pk_add_f16 v148, v133, s[8:9] offset:256     // 00000000A154: DD388100 00088594
	s_mov_b64 exec, s[36:37]                                   // 00000000A15C: BEFE0124
	s_mov_b64 exec, s[26:27]                                   // 00000000A160: BEFE011A
	global_atomic_pk_add_f16 v150, v134, s[8:9]                // 00000000A164: DD388000 00088696
	s_mov_b64 exec, s[36:37]                                   // 00000000A16C: BEFE0124
	s_mov_b64 exec, s[26:27]                                   // 00000000A170: BEFE011A
	global_atomic_pk_add_f16 v150, v135, s[8:9] offset:256     // 00000000A174: DD388100 00088796
	s_mov_b64 exec, s[36:37]                                   // 00000000A17C: BEFE0124
	s_mov_b64 exec, s[28:29]                                   // 00000000A180: BEFE011C
	global_atomic_pk_add_f16 v152, v136, s[8:9]                // 00000000A184: DD388000 00088898
	s_mov_b64 exec, s[36:37]                                   // 00000000A18C: BEFE0124
	s_mov_b64 exec, s[28:29]                                   // 00000000A190: BEFE011C
	global_atomic_pk_add_f16 v152, v137, s[8:9] offset:256     // 00000000A194: DD388100 00088998
	s_mov_b64 exec, s[36:37]                                   // 00000000A19C: BEFE0124
	s_mov_b64 exec, s[30:31]                                   // 00000000A1A0: BEFE011E
	global_atomic_pk_add_f16 v154, v138, s[8:9]                // 00000000A1A4: DD388000 00088A9A
	s_mov_b64 exec, s[36:37]                                   // 00000000A1AC: BEFE0124
	s_mov_b64 exec, s[30:31]                                   // 00000000A1B0: BEFE011E
	global_atomic_pk_add_f16 v154, v139, s[8:9] offset:256     // 00000000A1B4: DD388100 00088B9A
	s_mov_b64 exec, s[36:37]                                   // 00000000A1BC: BEFE0124
	s_mov_b64 exec, s[32:33]                                   // 00000000A1C0: BEFE0120
	global_atomic_pk_add_f16 v156, v140, s[8:9]                // 00000000A1C4: DD388000 00088C9C
	s_mov_b64 exec, s[36:37]                                   // 00000000A1CC: BEFE0124
	s_mov_b64 exec, s[32:33]                                   // 00000000A1D0: BEFE0120
	global_atomic_pk_add_f16 v156, v141, s[8:9] offset:256     // 00000000A1D4: DD388100 00088D9C
	s_mov_b64 exec, s[36:37]                                   // 00000000A1DC: BEFE0124
	s_mov_b64 exec, s[34:35]                                   // 00000000A1E0: BEFE0122
	global_atomic_pk_add_f16 v158, v142, s[8:9]                // 00000000A1E4: DD388000 00088E9E
	s_mov_b64 exec, s[36:37]                                   // 00000000A1EC: BEFE0124
	s_mov_b64 exec, s[34:35]                                   // 00000000A1F0: BEFE0122
	global_atomic_pk_add_f16 v158, v143, s[8:9] offset:256     // 00000000A1F4: DD388100 00088F9E
	s_mov_b64 exec, s[36:37]                                   // 00000000A1FC: BEFE0124

000000000000a200 <label_1D00>:
	s_waitcnt vmcnt(0) expcnt(0) lgkmcnt(0)                    // 00000000A200: BF8C0000
	s_add_u32 s100, s100, 1                                    // 00000000A204: 80648164
	s_cmp_eq_u32 s96, 0                                        // 00000000A208: BF068060
	s_cbranch_scc0 label_0039                                  // 00000000A20C: BF84E335

000000000000a210 <label_1D04>:
	s_waitcnt vmcnt(0) expcnt(0) lgkmcnt(0)                    // 00000000A210: BF8C0000
	s_endpgm                                                   // 00000000A214: BF810000
